;; amdgpu-corpus repo=ROCm/rocFFT kind=compiled arch=gfx1201 opt=O3
	.text
	.amdgcn_target "amdgcn-amd-amdhsa--gfx1201"
	.amdhsa_code_object_version 6
	.protected	fft_rtc_back_len1632_factors_17_2_2_3_8_wgs_102_tpt_102_halfLds_sp_ip_CI_sbrr_dirReg ; -- Begin function fft_rtc_back_len1632_factors_17_2_2_3_8_wgs_102_tpt_102_halfLds_sp_ip_CI_sbrr_dirReg
	.globl	fft_rtc_back_len1632_factors_17_2_2_3_8_wgs_102_tpt_102_halfLds_sp_ip_CI_sbrr_dirReg
	.p2align	8
	.type	fft_rtc_back_len1632_factors_17_2_2_3_8_wgs_102_tpt_102_halfLds_sp_ip_CI_sbrr_dirReg,@function
fft_rtc_back_len1632_factors_17_2_2_3_8_wgs_102_tpt_102_halfLds_sp_ip_CI_sbrr_dirReg: ; @fft_rtc_back_len1632_factors_17_2_2_3_8_wgs_102_tpt_102_halfLds_sp_ip_CI_sbrr_dirReg
; %bb.0:
	s_clause 0x2
	s_load_b64 s[12:13], s[0:1], 0x18
	s_load_b128 s[4:7], s[0:1], 0x0
	s_load_b64 s[10:11], s[0:1], 0x50
	v_mul_u32_u24_e32 v1, 0x283, v0
	v_mov_b32_e32 v3, 0
	s_delay_alu instid0(VALU_DEP_2) | instskip(NEXT) | instid1(VALU_DEP_1)
	v_lshrrev_b32_e32 v1, 16, v1
	v_add_nc_u32_e32 v5, ttmp9, v1
	v_mov_b32_e32 v1, 0
	v_mov_b32_e32 v2, 0
	;; [unrolled: 1-line block ×3, first 2 shown]
	s_wait_kmcnt 0x0
	s_load_b64 s[8:9], s[12:13], 0x0
	v_cmp_lt_u64_e64 s2, s[6:7], 2
	s_delay_alu instid0(VALU_DEP_1)
	s_and_b32 vcc_lo, exec_lo, s2
	s_cbranch_vccnz .LBB0_8
; %bb.1:
	s_load_b64 s[2:3], s[0:1], 0x10
	v_mov_b32_e32 v1, 0
	v_mov_b32_e32 v2, 0
	s_add_nc_u64 s[14:15], s[12:13], 8
	s_mov_b64 s[16:17], 1
	s_wait_kmcnt 0x0
	s_add_nc_u64 s[18:19], s[2:3], 8
	s_mov_b32 s3, 0
.LBB0_2:                                ; =>This Inner Loop Header: Depth=1
	s_load_b64 s[20:21], s[18:19], 0x0
                                        ; implicit-def: $vgpr7_vgpr8
	s_mov_b32 s2, exec_lo
	s_wait_kmcnt 0x0
	v_or_b32_e32 v4, s21, v6
	s_delay_alu instid0(VALU_DEP_1)
	v_cmpx_ne_u64_e32 0, v[3:4]
	s_wait_alu 0xfffe
	s_xor_b32 s22, exec_lo, s2
	s_cbranch_execz .LBB0_4
; %bb.3:                                ;   in Loop: Header=BB0_2 Depth=1
	s_cvt_f32_u32 s2, s20
	s_cvt_f32_u32 s23, s21
	s_sub_nc_u64 s[26:27], 0, s[20:21]
	s_wait_alu 0xfffe
	s_delay_alu instid0(SALU_CYCLE_1) | instskip(SKIP_1) | instid1(SALU_CYCLE_2)
	s_fmamk_f32 s2, s23, 0x4f800000, s2
	s_wait_alu 0xfffe
	v_s_rcp_f32 s2, s2
	s_delay_alu instid0(TRANS32_DEP_1) | instskip(SKIP_1) | instid1(SALU_CYCLE_2)
	s_mul_f32 s2, s2, 0x5f7ffffc
	s_wait_alu 0xfffe
	s_mul_f32 s23, s2, 0x2f800000
	s_wait_alu 0xfffe
	s_delay_alu instid0(SALU_CYCLE_2) | instskip(SKIP_1) | instid1(SALU_CYCLE_2)
	s_trunc_f32 s23, s23
	s_wait_alu 0xfffe
	s_fmamk_f32 s2, s23, 0xcf800000, s2
	s_cvt_u32_f32 s25, s23
	s_wait_alu 0xfffe
	s_delay_alu instid0(SALU_CYCLE_1) | instskip(SKIP_1) | instid1(SALU_CYCLE_2)
	s_cvt_u32_f32 s24, s2
	s_wait_alu 0xfffe
	s_mul_u64 s[28:29], s[26:27], s[24:25]
	s_wait_alu 0xfffe
	s_mul_hi_u32 s31, s24, s29
	s_mul_i32 s30, s24, s29
	s_mul_hi_u32 s2, s24, s28
	s_mul_i32 s33, s25, s28
	s_wait_alu 0xfffe
	s_add_nc_u64 s[30:31], s[2:3], s[30:31]
	s_mul_hi_u32 s23, s25, s28
	s_mul_hi_u32 s34, s25, s29
	s_add_co_u32 s2, s30, s33
	s_wait_alu 0xfffe
	s_add_co_ci_u32 s2, s31, s23
	s_mul_i32 s28, s25, s29
	s_add_co_ci_u32 s29, s34, 0
	s_wait_alu 0xfffe
	s_add_nc_u64 s[28:29], s[2:3], s[28:29]
	s_wait_alu 0xfffe
	v_add_co_u32 v4, s2, s24, s28
	s_delay_alu instid0(VALU_DEP_1) | instskip(SKIP_1) | instid1(VALU_DEP_1)
	s_cmp_lg_u32 s2, 0
	s_add_co_ci_u32 s25, s25, s29
	v_readfirstlane_b32 s24, v4
	s_wait_alu 0xfffe
	s_delay_alu instid0(VALU_DEP_1)
	s_mul_u64 s[26:27], s[26:27], s[24:25]
	s_wait_alu 0xfffe
	s_mul_hi_u32 s29, s24, s27
	s_mul_i32 s28, s24, s27
	s_mul_hi_u32 s2, s24, s26
	s_mul_i32 s30, s25, s26
	s_wait_alu 0xfffe
	s_add_nc_u64 s[28:29], s[2:3], s[28:29]
	s_mul_hi_u32 s23, s25, s26
	s_mul_hi_u32 s24, s25, s27
	s_wait_alu 0xfffe
	s_add_co_u32 s2, s28, s30
	s_add_co_ci_u32 s2, s29, s23
	s_mul_i32 s26, s25, s27
	s_add_co_ci_u32 s27, s24, 0
	s_wait_alu 0xfffe
	s_add_nc_u64 s[26:27], s[2:3], s[26:27]
	s_wait_alu 0xfffe
	v_add_co_u32 v4, s2, v4, s26
	s_delay_alu instid0(VALU_DEP_1) | instskip(SKIP_1) | instid1(VALU_DEP_1)
	s_cmp_lg_u32 s2, 0
	s_add_co_ci_u32 s2, s25, s27
	v_mul_hi_u32 v13, v5, v4
	s_wait_alu 0xfffe
	v_mad_co_u64_u32 v[7:8], null, v5, s2, 0
	v_mad_co_u64_u32 v[9:10], null, v6, v4, 0
	;; [unrolled: 1-line block ×3, first 2 shown]
	s_delay_alu instid0(VALU_DEP_3) | instskip(SKIP_1) | instid1(VALU_DEP_4)
	v_add_co_u32 v4, vcc_lo, v13, v7
	s_wait_alu 0xfffd
	v_add_co_ci_u32_e32 v7, vcc_lo, 0, v8, vcc_lo
	s_delay_alu instid0(VALU_DEP_2) | instskip(SKIP_1) | instid1(VALU_DEP_2)
	v_add_co_u32 v4, vcc_lo, v4, v9
	s_wait_alu 0xfffd
	v_add_co_ci_u32_e32 v4, vcc_lo, v7, v10, vcc_lo
	s_wait_alu 0xfffd
	v_add_co_ci_u32_e32 v7, vcc_lo, 0, v12, vcc_lo
	s_delay_alu instid0(VALU_DEP_2) | instskip(SKIP_1) | instid1(VALU_DEP_2)
	v_add_co_u32 v4, vcc_lo, v4, v11
	s_wait_alu 0xfffd
	v_add_co_ci_u32_e32 v9, vcc_lo, 0, v7, vcc_lo
	s_delay_alu instid0(VALU_DEP_2) | instskip(SKIP_1) | instid1(VALU_DEP_3)
	v_mul_lo_u32 v10, s21, v4
	v_mad_co_u64_u32 v[7:8], null, s20, v4, 0
	v_mul_lo_u32 v11, s20, v9
	s_delay_alu instid0(VALU_DEP_2) | instskip(NEXT) | instid1(VALU_DEP_2)
	v_sub_co_u32 v7, vcc_lo, v5, v7
	v_add3_u32 v8, v8, v11, v10
	s_delay_alu instid0(VALU_DEP_1) | instskip(SKIP_1) | instid1(VALU_DEP_1)
	v_sub_nc_u32_e32 v10, v6, v8
	s_wait_alu 0xfffd
	v_subrev_co_ci_u32_e64 v10, s2, s21, v10, vcc_lo
	v_add_co_u32 v11, s2, v4, 2
	s_wait_alu 0xf1ff
	v_add_co_ci_u32_e64 v12, s2, 0, v9, s2
	v_sub_co_u32 v13, s2, v7, s20
	v_sub_co_ci_u32_e32 v8, vcc_lo, v6, v8, vcc_lo
	s_wait_alu 0xf1ff
	v_subrev_co_ci_u32_e64 v10, s2, 0, v10, s2
	s_delay_alu instid0(VALU_DEP_3) | instskip(NEXT) | instid1(VALU_DEP_3)
	v_cmp_le_u32_e32 vcc_lo, s20, v13
	v_cmp_eq_u32_e64 s2, s21, v8
	s_wait_alu 0xfffd
	v_cndmask_b32_e64 v13, 0, -1, vcc_lo
	v_cmp_le_u32_e32 vcc_lo, s21, v10
	s_wait_alu 0xfffd
	v_cndmask_b32_e64 v14, 0, -1, vcc_lo
	v_cmp_le_u32_e32 vcc_lo, s20, v7
	;; [unrolled: 3-line block ×3, first 2 shown]
	s_wait_alu 0xfffd
	v_cndmask_b32_e64 v15, 0, -1, vcc_lo
	v_cmp_eq_u32_e32 vcc_lo, s21, v10
	s_wait_alu 0xf1ff
	s_delay_alu instid0(VALU_DEP_2)
	v_cndmask_b32_e64 v7, v15, v7, s2
	s_wait_alu 0xfffd
	v_cndmask_b32_e32 v10, v14, v13, vcc_lo
	v_add_co_u32 v13, vcc_lo, v4, 1
	s_wait_alu 0xfffd
	v_add_co_ci_u32_e32 v14, vcc_lo, 0, v9, vcc_lo
	s_delay_alu instid0(VALU_DEP_3) | instskip(SKIP_2) | instid1(VALU_DEP_3)
	v_cmp_ne_u32_e32 vcc_lo, 0, v10
	s_wait_alu 0xfffd
	v_cndmask_b32_e32 v10, v13, v11, vcc_lo
	v_cndmask_b32_e32 v8, v14, v12, vcc_lo
	v_cmp_ne_u32_e32 vcc_lo, 0, v7
	s_wait_alu 0xfffd
	s_delay_alu instid0(VALU_DEP_2)
	v_dual_cndmask_b32 v7, v4, v10 :: v_dual_cndmask_b32 v8, v9, v8
.LBB0_4:                                ;   in Loop: Header=BB0_2 Depth=1
	s_wait_alu 0xfffe
	s_and_not1_saveexec_b32 s2, s22
	s_cbranch_execz .LBB0_6
; %bb.5:                                ;   in Loop: Header=BB0_2 Depth=1
	v_cvt_f32_u32_e32 v4, s20
	s_sub_co_i32 s22, 0, s20
	s_delay_alu instid0(VALU_DEP_1) | instskip(NEXT) | instid1(TRANS32_DEP_1)
	v_rcp_iflag_f32_e32 v4, v4
	v_mul_f32_e32 v4, 0x4f7ffffe, v4
	s_delay_alu instid0(VALU_DEP_1) | instskip(SKIP_1) | instid1(VALU_DEP_1)
	v_cvt_u32_f32_e32 v4, v4
	s_wait_alu 0xfffe
	v_mul_lo_u32 v7, s22, v4
	s_delay_alu instid0(VALU_DEP_1) | instskip(NEXT) | instid1(VALU_DEP_1)
	v_mul_hi_u32 v7, v4, v7
	v_add_nc_u32_e32 v4, v4, v7
	s_delay_alu instid0(VALU_DEP_1) | instskip(NEXT) | instid1(VALU_DEP_1)
	v_mul_hi_u32 v4, v5, v4
	v_mul_lo_u32 v7, v4, s20
	v_add_nc_u32_e32 v8, 1, v4
	s_delay_alu instid0(VALU_DEP_2) | instskip(NEXT) | instid1(VALU_DEP_1)
	v_sub_nc_u32_e32 v7, v5, v7
	v_subrev_nc_u32_e32 v9, s20, v7
	v_cmp_le_u32_e32 vcc_lo, s20, v7
	s_wait_alu 0xfffd
	s_delay_alu instid0(VALU_DEP_2) | instskip(NEXT) | instid1(VALU_DEP_1)
	v_dual_cndmask_b32 v7, v7, v9 :: v_dual_cndmask_b32 v4, v4, v8
	v_cmp_le_u32_e32 vcc_lo, s20, v7
	s_delay_alu instid0(VALU_DEP_2) | instskip(SKIP_1) | instid1(VALU_DEP_1)
	v_add_nc_u32_e32 v8, 1, v4
	s_wait_alu 0xfffd
	v_dual_cndmask_b32 v7, v4, v8 :: v_dual_mov_b32 v8, v3
.LBB0_6:                                ;   in Loop: Header=BB0_2 Depth=1
	s_wait_alu 0xfffe
	s_or_b32 exec_lo, exec_lo, s2
	s_load_b64 s[22:23], s[14:15], 0x0
	s_delay_alu instid0(VALU_DEP_1)
	v_mul_lo_u32 v4, v8, s20
	v_mul_lo_u32 v11, v7, s21
	v_mad_co_u64_u32 v[9:10], null, v7, s20, 0
	s_add_nc_u64 s[16:17], s[16:17], 1
	s_add_nc_u64 s[14:15], s[14:15], 8
	s_wait_alu 0xfffe
	v_cmp_ge_u64_e64 s2, s[16:17], s[6:7]
	s_add_nc_u64 s[18:19], s[18:19], 8
	s_delay_alu instid0(VALU_DEP_2) | instskip(NEXT) | instid1(VALU_DEP_3)
	v_add3_u32 v4, v10, v11, v4
	v_sub_co_u32 v5, vcc_lo, v5, v9
	s_wait_alu 0xfffd
	s_delay_alu instid0(VALU_DEP_2) | instskip(SKIP_3) | instid1(VALU_DEP_2)
	v_sub_co_ci_u32_e32 v4, vcc_lo, v6, v4, vcc_lo
	s_and_b32 vcc_lo, exec_lo, s2
	s_wait_kmcnt 0x0
	v_mul_lo_u32 v6, s23, v5
	v_mul_lo_u32 v4, s22, v4
	v_mad_co_u64_u32 v[1:2], null, s22, v5, v[1:2]
	s_delay_alu instid0(VALU_DEP_1)
	v_add3_u32 v2, v6, v2, v4
	s_wait_alu 0xfffe
	s_cbranch_vccnz .LBB0_9
; %bb.7:                                ;   in Loop: Header=BB0_2 Depth=1
	v_dual_mov_b32 v5, v7 :: v_dual_mov_b32 v6, v8
	s_branch .LBB0_2
.LBB0_8:
	v_dual_mov_b32 v8, v6 :: v_dual_mov_b32 v7, v5
.LBB0_9:
	s_lshl_b64 s[2:3], s[6:7], 3
	v_mul_hi_u32 v3, 0x2828283, v0
	s_wait_alu 0xfffe
	s_add_nc_u64 s[2:3], s[12:13], s[2:3]
	v_dual_mov_b32 v10, 0 :: v_dual_mov_b32 v9, 0
	s_load_b64 s[2:3], s[2:3], 0x0
	s_load_b64 s[0:1], s[0:1], 0x20
                                        ; implicit-def: $vgpr26
                                        ; implicit-def: $vgpr22
                                        ; implicit-def: $vgpr15
                                        ; implicit-def: $vgpr30
                                        ; implicit-def: $vgpr28
                                        ; implicit-def: $vgpr24
                                        ; implicit-def: $vgpr20
                                        ; implicit-def: $vgpr38
                                        ; implicit-def: $vgpr36
                                        ; implicit-def: $vgpr34
                                        ; implicit-def: $vgpr32
                                        ; implicit-def: $vgpr48
                                        ; implicit-def: $vgpr46
                                        ; implicit-def: $vgpr42
                                        ; implicit-def: $vgpr40
                                        ; implicit-def: $vgpr44
	s_delay_alu instid0(VALU_DEP_2) | instskip(NEXT) | instid1(VALU_DEP_1)
	v_mul_u32_u24_e32 v3, 0x66, v3
	v_sub_nc_u32_e32 v56, v0, v3
	s_wait_kmcnt 0x0
	v_mul_lo_u32 v4, s2, v8
	v_mul_lo_u32 v5, s3, v7
	v_mad_co_u64_u32 v[1:2], null, s2, v7, v[1:2]
	v_cmp_gt_u64_e32 vcc_lo, s[0:1], v[7:8]
	v_cmp_gt_u32_e64 s0, 0x60, v56
	s_delay_alu instid0(VALU_DEP_1) | instskip(NEXT) | instid1(VALU_DEP_3)
	s_and_b32 s1, vcc_lo, s0
	v_add3_u32 v2, v5, v2, v4
	s_delay_alu instid0(VALU_DEP_1)
	v_lshlrev_b64_e32 v[16:17], 3, v[1:2]
	s_wait_alu 0xfffe
	s_and_saveexec_b32 s2, s1
	s_cbranch_execz .LBB0_11
; %bb.10:
	v_or_b32_e32 v13, 0x180, v56
	v_add_nc_u32_e32 v8, 0x60, v56
	v_mad_co_u64_u32 v[0:1], null, s8, v56, 0
	v_add_co_u32 v49, s1, s10, v16
	s_delay_alu instid0(VALU_DEP_4) | instskip(SKIP_4) | instid1(VALU_DEP_3)
	v_mad_co_u64_u32 v[11:12], null, s8, v13, 0
	v_add_nc_u32_e32 v9, 0xc0, v56
	v_mad_co_u64_u32 v[2:3], null, s8, v8, 0
	s_wait_alu 0xf1ff
	v_add_co_ci_u32_e64 v50, s1, s11, v17, s1
	v_mad_co_u64_u32 v[4:5], null, s8, v9, 0
	v_add_nc_u32_e32 v10, 0x120, v56
	v_add_nc_u32_e32 v14, 0x1e0, v56
	v_mad_co_u64_u32 v[6:7], null, s9, v56, v[1:2]
	v_dual_mov_b32 v1, v3 :: v_dual_add_nc_u32 v20, 0x2a0, v56
	v_mov_b32_e32 v3, v5
	s_delay_alu instid0(VALU_DEP_4) | instskip(NEXT) | instid1(VALU_DEP_3)
	v_mad_co_u64_u32 v[18:19], null, s8, v14, 0
	v_mad_co_u64_u32 v[7:8], null, s9, v8, v[1:2]
	v_mov_b32_e32 v1, v6
	s_delay_alu instid0(VALU_DEP_4) | instskip(SKIP_3) | instid1(VALU_DEP_4)
	v_mad_co_u64_u32 v[5:6], null, s9, v9, v[3:4]
	v_mad_co_u64_u32 v[8:9], null, s8, v10, 0
	;; [unrolled: 1-line block ×3, first 2 shown]
	v_mov_b32_e32 v3, v7
	v_lshlrev_b64_e32 v[4:5], 3, v[4:5]
	s_delay_alu instid0(VALU_DEP_4) | instskip(SKIP_1) | instid1(VALU_DEP_4)
	v_mov_b32_e32 v6, v9
	v_lshlrev_b64_e32 v[0:1], 3, v[0:1]
	v_lshlrev_b64_e32 v[2:3], 3, v[2:3]
	s_delay_alu instid0(VALU_DEP_3) | instskip(NEXT) | instid1(VALU_DEP_3)
	v_mad_co_u64_u32 v[6:7], null, s9, v10, v[6:7]
	v_add_co_u32 v0, s1, v49, v0
	s_wait_alu 0xf1ff
	s_delay_alu instid0(VALU_DEP_4) | instskip(NEXT) | instid1(VALU_DEP_4)
	v_add_co_ci_u32_e64 v1, s1, v50, v1, s1
	v_add_co_u32 v2, s1, v49, v2
	s_delay_alu instid0(VALU_DEP_4) | instskip(SKIP_3) | instid1(VALU_DEP_3)
	v_dual_mov_b32 v9, v6 :: v_dual_mov_b32 v6, v12
	v_mov_b32_e32 v7, v19
	s_wait_alu 0xf1ff
	v_add_co_ci_u32_e64 v3, s1, v50, v3, s1
	v_lshlrev_b64_e32 v[8:9], 3, v[8:9]
	v_add_co_u32 v4, s1, v49, v4
	s_wait_alu 0xf1ff
	v_add_co_ci_u32_e64 v5, s1, v50, v5, s1
	v_mad_co_u64_u32 v[12:13], null, s9, v13, v[6:7]
	s_delay_alu instid0(VALU_DEP_4)
	v_mad_co_u64_u32 v[6:7], null, s9, v14, v[7:8]
	v_add_co_u32 v7, s1, v49, v8
	s_wait_alu 0xf1ff
	v_add_co_ci_u32_e64 v8, s1, v50, v9, s1
	s_clause 0x3
	global_load_b64 v[9:10], v[0:1], off
	global_load_b64 v[25:26], v[2:3], off
	;; [unrolled: 1-line block ×4, first 2 shown]
	v_add_nc_u32_e32 v13, 0x240, v56
	v_mov_b32_e32 v19, v6
	v_lshlrev_b64_e32 v[0:1], 3, v[11:12]
	s_delay_alu instid0(VALU_DEP_3) | instskip(NEXT) | instid1(VALU_DEP_3)
	v_mad_co_u64_u32 v[23:24], null, s8, v13, 0
	v_lshlrev_b64_e32 v[3:4], 3, v[18:19]
	v_or_b32_e32 v18, 0x300, v56
	s_delay_alu instid0(VALU_DEP_4)
	v_add_co_u32 v0, s1, v49, v0
	s_wait_alu 0xf1ff
	v_add_co_ci_u32_e64 v1, s1, v50, v1, s1
	v_mov_b32_e32 v2, v24
	v_mad_co_u64_u32 v[11:12], null, s8, v18, 0
	v_mov_b32_e32 v5, v28
	v_add_nc_u32_e32 v19, 0x360, v56
	s_delay_alu instid0(VALU_DEP_4)
	v_mad_co_u64_u32 v[6:7], null, s9, v13, v[2:3]
	v_add_co_u32 v2, s1, v49, v3
	s_wait_alu 0xf1ff
	v_add_co_ci_u32_e64 v3, s1, v50, v4, s1
	v_mov_b32_e32 v4, v12
	v_mad_co_u64_u32 v[31:32], null, s8, v19, 0
	v_mad_co_u64_u32 v[7:8], null, s9, v20, v[5:6]
	v_mov_b32_e32 v24, v6
	s_delay_alu instid0(VALU_DEP_1) | instskip(NEXT) | instid1(VALU_DEP_3)
	v_lshlrev_b64_e32 v[5:6], 3, v[23:24]
	v_mov_b32_e32 v28, v7
	s_delay_alu instid0(VALU_DEP_1) | instskip(NEXT) | instid1(VALU_DEP_3)
	v_lshlrev_b64_e32 v[7:8], 3, v[27:28]
	v_mad_co_u64_u32 v[12:13], null, s9, v18, v[4:5]
	v_add_co_u32 v4, s1, v49, v5
	s_wait_alu 0xf1ff
	v_add_co_ci_u32_e64 v5, s1, v50, v6, s1
	s_delay_alu instid0(VALU_DEP_4) | instskip(SKIP_4) | instid1(VALU_DEP_3)
	v_add_co_u32 v6, s1, v49, v7
	v_add_nc_u32_e32 v13, 0x3c0, v56
	s_wait_alu 0xf1ff
	v_add_co_ci_u32_e64 v7, s1, v50, v8, s1
	v_mov_b32_e32 v8, v32
	v_mad_co_u64_u32 v[33:34], null, s8, v13, 0
	s_wait_loadcnt 0x3
	s_delay_alu instid0(VALU_DEP_2)
	v_mad_co_u64_u32 v[18:19], null, s9, v19, v[8:9]
	v_add_nc_u32_e32 v8, 0x420, v56
	s_clause 0x3
	global_load_b64 v[29:30], v[0:1], off
	global_load_b64 v[27:28], v[2:3], off
	;; [unrolled: 1-line block ×4, first 2 shown]
	v_mov_b32_e32 v2, v34
	v_lshlrev_b64_e32 v[0:1], 3, v[11:12]
	v_mad_co_u64_u32 v[3:4], null, s8, v8, 0
	v_mov_b32_e32 v32, v18
	v_add_nc_u32_e32 v18, 0x4e0, v56
	s_delay_alu instid0(VALU_DEP_4)
	v_add_co_u32 v0, s1, v49, v0
	s_wait_alu 0xf1ff
	v_add_co_ci_u32_e64 v1, s1, v50, v1, s1
	v_mad_co_u64_u32 v[5:6], null, s9, v13, v[2:3]
	v_mov_b32_e32 v2, v4
	v_or_b32_e32 v13, 0x480, v56
	v_lshlrev_b64_e32 v[6:7], 3, v[31:32]
	v_mad_co_u64_u32 v[39:40], null, s8, v18, 0
	v_dual_mov_b32 v34, v5 :: v_dual_add_nc_u32 v31, 0x540, v56
	v_mad_co_u64_u32 v[4:5], null, s9, v8, v[2:3]
	v_mad_co_u64_u32 v[11:12], null, s8, v13, 0
	v_add_co_u32 v5, s1, v49, v6
	s_wait_alu 0xf1ff
	v_add_co_ci_u32_e64 v6, s1, v50, v7, s1
	v_lshlrev_b64_e32 v[7:8], 3, v[33:34]
	v_lshlrev_b64_e32 v[3:4], 3, v[3:4]
	v_mov_b32_e32 v2, v12
	v_mad_co_u64_u32 v[41:42], null, s8, v31, 0
	s_delay_alu instid0(VALU_DEP_4)
	v_add_co_u32 v7, s1, v49, v7
	s_wait_alu 0xf1ff
	v_add_co_ci_u32_e64 v8, s1, v50, v8, s1
	v_mad_co_u64_u32 v[12:13], null, s9, v13, v[2:3]
	v_dual_mov_b32 v2, v40 :: v_dual_add_nc_u32 v13, 0x5a0, v56
	v_add_co_u32 v3, s1, v49, v3
	s_wait_alu 0xf1ff
	v_add_co_ci_u32_e64 v4, s1, v50, v4, s1
	s_delay_alu instid0(VALU_DEP_2) | instskip(SKIP_3) | instid1(VALU_DEP_3)
	v_mad_co_u64_u32 v[43:44], null, s9, v18, v[2:3]
	v_mov_b32_e32 v2, v42
	v_or_b32_e32 v18, 0x600, v56
	v_mad_co_u64_u32 v[44:45], null, s8, v13, 0
	v_mad_co_u64_u32 v[46:47], null, s9, v31, v[2:3]
	s_delay_alu instid0(VALU_DEP_3)
	v_mad_co_u64_u32 v[47:48], null, s8, v18, 0
	s_clause 0x3
	global_load_b64 v[37:38], v[0:1], off
	global_load_b64 v[35:36], v[5:6], off
	;; [unrolled: 1-line block ×4, first 2 shown]
	v_lshlrev_b64_e32 v[1:2], 3, v[11:12]
	v_mov_b32_e32 v0, v45
	v_mov_b32_e32 v40, v43
	;; [unrolled: 1-line block ×3, first 2 shown]
	s_delay_alu instid0(VALU_DEP_3)
	v_mad_co_u64_u32 v[3:4], null, s9, v13, v[0:1]
	v_mov_b32_e32 v0, v48
	v_add_co_u32 v1, s1, v49, v1
	v_lshlrev_b64_e32 v[4:5], 3, v[39:40]
	s_wait_alu 0xf1ff
	v_add_co_ci_u32_e64 v2, s1, v50, v2, s1
	s_delay_alu instid0(VALU_DEP_3)
	v_mad_co_u64_u32 v[6:7], null, s9, v18, v[0:1]
	v_lshlrev_b64_e32 v[7:8], 3, v[41:42]
	v_mov_b32_e32 v45, v3
	v_add_co_u32 v3, s1, v49, v4
	s_wait_alu 0xf1ff
	v_add_co_ci_u32_e64 v4, s1, v50, v5, s1
	v_mov_b32_e32 v48, v6
	v_lshlrev_b64_e32 v[11:12], 3, v[44:45]
	v_add_co_u32 v5, s1, v49, v7
	s_wait_alu 0xf1ff
	v_add_co_ci_u32_e64 v6, s1, v50, v8, s1
	v_lshlrev_b64_e32 v[7:8], 3, v[47:48]
	s_delay_alu instid0(VALU_DEP_4) | instskip(SKIP_2) | instid1(VALU_DEP_3)
	v_add_co_u32 v11, s1, v49, v11
	s_wait_alu 0xf1ff
	v_add_co_ci_u32_e64 v12, s1, v50, v12, s1
	v_add_co_u32 v7, s1, v49, v7
	s_wait_alu 0xf1ff
	v_add_co_ci_u32_e64 v8, s1, v50, v8, s1
	s_clause 0x4
	global_load_b64 v[47:48], v[1:2], off
	global_load_b64 v[45:46], v[3:4], off
	;; [unrolled: 1-line block ×5, first 2 shown]
.LBB0_11:
	s_wait_alu 0xfffe
	s_or_b32 exec_lo, exec_lo, s2
	s_wait_loadcnt 0x0
	v_dual_sub_f32 v0, v26, v40 :: v_dual_add_f32 v69, v21, v43
	v_dual_add_f32 v68, v25, v39 :: v_dual_sub_f32 v1, v22, v44
	v_sub_f32_e32 v2, v15, v42
	s_delay_alu instid0(VALU_DEP_3) | instskip(SKIP_1) | instid1(VALU_DEP_4)
	v_dual_mul_f32 v6, 0xbeb8f4ab, v0 :: v_dual_sub_f32 v3, v30, v46
	v_add_f32_e32 v55, v29, v45
	v_mul_f32_e32 v7, 0xbf2c7751, v1
	s_delay_alu instid0(VALU_DEP_4) | instskip(NEXT) | instid1(VALU_DEP_4)
	v_dual_add_f32 v54, v14, v41 :: v_dual_mul_f32 v11, 0xbf65296c, v2
	v_fma_f32 v4, 0x3f6eb680, v68, -v6
	v_mul_f32_e32 v12, 0xbf7ee86f, v3
	s_delay_alu instid0(VALU_DEP_4) | instskip(SKIP_1) | instid1(VALU_DEP_4)
	v_fma_f32 v5, 0x3f3d2fb0, v69, -v7
	v_dual_add_f32 v53, v19, v33 :: v_dual_add_f32 v52, v37, v35
	v_dual_add_f32 v8, v9, v4 :: v_dual_add_f32 v59, v27, v47
	v_sub_f32_e32 v4, v28, v48
	v_fma_f32 v13, 0x3ee437d1, v54, -v11
	s_delay_alu instid0(VALU_DEP_3) | instskip(SKIP_2) | instid1(VALU_DEP_3)
	v_dual_add_f32 v57, v23, v31 :: v_dual_add_f32 v8, v8, v5
	v_sub_f32_e32 v5, v24, v32
	v_fma_f32 v49, 0x3dbcf732, v55, -v12
	v_dual_add_f32 v13, v13, v8 :: v_dual_sub_f32 v8, v20, v34
	v_mul_f32_e32 v18, 0xbf763a35, v4
	s_delay_alu instid0(VALU_DEP_4) | instskip(NEXT) | instid1(VALU_DEP_3)
	v_mul_f32_e32 v50, 0xbf4c4adb, v5
	v_add_f32_e32 v13, v49, v13
	s_delay_alu instid0(VALU_DEP_3) | instskip(NEXT) | instid1(VALU_DEP_1)
	v_fma_f32 v51, 0xbe8c1d8e, v59, -v18
	v_add_f32_e32 v51, v51, v13
	v_sub_f32_e32 v13, v38, v36
	v_fma_f32 v58, 0xbf1a4643, v57, -v50
	s_delay_alu instid0(VALU_DEP_1) | instskip(NEXT) | instid1(VALU_DEP_1)
	v_dual_mul_f32 v49, 0xbf06c442, v8 :: v_dual_add_f32 v58, v58, v51
	v_fma_f32 v60, 0xbf59a7d5, v53, -v49
	s_delay_alu instid0(VALU_DEP_1) | instskip(NEXT) | instid1(VALU_DEP_1)
	v_dual_add_f32 v58, v60, v58 :: v_dual_mul_f32 v51, 0xbe3c28d5, v13
	v_fma_f32 v60, 0xbf7ba420, v52, -v51
	s_delay_alu instid0(VALU_DEP_1)
	v_add_f32_e32 v58, v60, v58
	s_and_saveexec_b32 s1, s0
	s_cbranch_execz .LBB0_13
; %bb.12:
	v_dual_mul_f32 v63, 0xbf1a4643, v57 :: v_dual_mul_f32 v76, 0xbf1a4643, v59
	v_mul_f32_e32 v62, 0xbe8c1d8e, v59
	v_mul_f32_e32 v84, 0xbf59a7d5, v55
	;; [unrolled: 1-line block ×4, first 2 shown]
	v_fmamk_f32 v79, v4, 0x3f4c4adb, v76
	v_mul_f32_e32 v72, 0xbf59a7d5, v54
	v_fmac_f32_e32 v76, 0xbf4c4adb, v4
	v_mul_f32_e32 v77, 0x3ee437d1, v57
	v_fmamk_f32 v90, v13, 0xbf2c7751, v89
	v_mul_f32_e32 v83, 0x3f6eb680, v54
	v_fmamk_f32 v75, v2, 0x3f06c442, v72
	v_fmac_f32_e32 v72, 0xbf06c442, v2
	v_mul_f32_e32 v71, 0x3f6eb680, v69
	v_fmamk_f32 v80, v5, 0xbf65296c, v77
	v_mul_f32_e32 v74, 0x3f3d2fb0, v55
	v_mul_f32_e32 v85, 0x3ee437d1, v55
	s_delay_alu instid0(VALU_DEP_2) | instskip(SKIP_4) | instid1(VALU_DEP_2)
	v_fmamk_f32 v78, v3, 0xbf2c7751, v74
	v_fmac_f32_e32 v74, 0x3f2c7751, v3
	v_fmamk_f32 v61, v1, 0xbeb8f4ab, v71
	v_mul_f32_e32 v70, 0xbf7ba420, v68
	v_fmac_f32_e32 v71, 0x3eb8f4ab, v1
	v_fmamk_f32 v60, v0, 0x3e3c28d5, v70
	s_delay_alu instid0(VALU_DEP_1) | instskip(NEXT) | instid1(VALU_DEP_1)
	v_dual_mul_f32 v66, 0x3f3d2fb0, v69 :: v_dual_add_f32 v73, v9, v60
	v_add_f32_e32 v7, v7, v66
	s_delay_alu instid0(VALU_DEP_2) | instskip(NEXT) | instid1(VALU_DEP_1)
	v_add_f32_e32 v73, v73, v61
	v_dual_add_f32 v73, v75, v73 :: v_dual_mul_f32 v64, 0x3dbcf732, v55
	v_mul_f32_e32 v75, 0xbe8c1d8e, v53
	s_delay_alu instid0(VALU_DEP_2) | instskip(NEXT) | instid1(VALU_DEP_2)
	v_add_f32_e32 v73, v78, v73
	v_fmamk_f32 v81, v8, 0x3f763a35, v75
	v_fmac_f32_e32 v75, 0xbf763a35, v8
	s_delay_alu instid0(VALU_DEP_3) | instskip(NEXT) | instid1(VALU_DEP_1)
	v_add_f32_e32 v73, v79, v73
	v_dual_add_f32 v73, v80, v73 :: v_dual_mul_f32 v80, 0x3dbcf732, v54
	s_delay_alu instid0(VALU_DEP_1) | instskip(SKIP_1) | instid1(VALU_DEP_1)
	v_add_f32_e32 v73, v81, v73
	v_mul_f32_e32 v81, 0x3dbcf732, v52
	v_fmamk_f32 v82, v13, 0xbf7ee86f, v81
	v_fmac_f32_e32 v70, 0xbe3c28d5, v0
	v_fmac_f32_e32 v81, 0x3f7ee86f, v13
	s_delay_alu instid0(VALU_DEP_3) | instskip(NEXT) | instid1(VALU_DEP_3)
	v_add_f32_e32 v73, v82, v73
	v_dual_mul_f32 v67, 0x3f6eb680, v68 :: v_dual_add_f32 v70, v9, v70
	v_mul_f32_e32 v65, 0x3ee437d1, v54
	v_mul_f32_e32 v82, 0xbf1a4643, v68
	s_delay_alu instid0(VALU_DEP_3) | instskip(NEXT) | instid1(VALU_DEP_4)
	v_add_f32_e32 v6, v6, v67
	v_dual_add_f32 v70, v70, v71 :: v_dual_mul_f32 v71, 0x3ee437d1, v69
	s_delay_alu instid0(VALU_DEP_2) | instskip(NEXT) | instid1(VALU_DEP_2)
	v_add_f32_e32 v6, v9, v6
	v_add_f32_e32 v70, v72, v70
	s_delay_alu instid0(VALU_DEP_2) | instskip(NEXT) | instid1(VALU_DEP_2)
	v_add_f32_e32 v6, v6, v7
	v_add_f32_e32 v70, v74, v70
	v_fmamk_f32 v74, v2, 0x3f7ee86f, v80
	v_fmac_f32_e32 v80, 0xbf7ee86f, v2
	v_dual_mul_f32 v78, 0xbf59a7d5, v68 :: v_dual_add_f32 v7, v11, v65
	s_delay_alu instid0(VALU_DEP_4) | instskip(SKIP_1) | instid1(VALU_DEP_3)
	v_dual_add_f32 v70, v76, v70 :: v_dual_fmac_f32 v77, 0x3f65296c, v5
	v_mul_f32_e32 v76, 0x3f6eb680, v59
	v_dual_add_f32 v6, v7, v6 :: v_dual_add_f32 v7, v12, v64
	s_delay_alu instid0(VALU_DEP_3) | instskip(SKIP_1) | instid1(VALU_DEP_3)
	v_dual_add_f32 v70, v77, v70 :: v_dual_fmamk_f32 v79, v0, 0x3f06c442, v78
	v_fmac_f32_e32 v78, 0xbf06c442, v0
	v_dual_mul_f32 v77, 0xbf7ba420, v57 :: v_dual_add_f32 v6, v7, v6
	s_delay_alu instid0(VALU_DEP_3) | instskip(NEXT) | instid1(VALU_DEP_4)
	v_add_f32_e32 v70, v75, v70
	v_add_f32_e32 v72, v9, v79
	v_fmamk_f32 v79, v1, 0xbf65296c, v71
	v_dual_mul_f32 v61, 0xbf7ba420, v52 :: v_dual_add_f32 v78, v9, v78
	s_delay_alu instid0(VALU_DEP_4) | instskip(NEXT) | instid1(VALU_DEP_3)
	v_add_f32_e32 v70, v81, v70
	v_dual_add_f32 v7, v18, v62 :: v_dual_add_f32 v72, v72, v79
	s_delay_alu instid0(VALU_DEP_1) | instskip(NEXT) | instid1(VALU_DEP_2)
	v_dual_mul_f32 v79, 0xbf1a4643, v55 :: v_dual_add_f32 v6, v7, v6
	v_add_f32_e32 v72, v74, v72
	s_delay_alu instid0(VALU_DEP_2) | instskip(NEXT) | instid1(VALU_DEP_1)
	v_dual_fmamk_f32 v74, v3, 0xbf4c4adb, v79 :: v_dual_add_f32 v7, v50, v63
	v_dual_add_f32 v72, v74, v72 :: v_dual_fmac_f32 v71, 0x3f65296c, v1
	v_mul_f32_e32 v60, 0xbf59a7d5, v53
	v_fmamk_f32 v74, v4, 0x3eb8f4ab, v76
	v_fmac_f32_e32 v76, 0xbeb8f4ab, v4
	s_delay_alu instid0(VALU_DEP_4) | instskip(SKIP_1) | instid1(VALU_DEP_4)
	v_dual_add_f32 v6, v7, v6 :: v_dual_add_f32 v71, v78, v71
	v_mul_f32_e32 v78, 0xbe8c1d8e, v69
	v_add_f32_e32 v72, v74, v72
	v_fmamk_f32 v74, v5, 0x3e3c28d5, v77
	v_add_f32_e32 v7, v49, v60
	v_dual_add_f32 v71, v80, v71 :: v_dual_mul_f32 v80, 0xbe8c1d8e, v52
	v_fmamk_f32 v81, v1, 0xbf763a35, v78
	s_delay_alu instid0(VALU_DEP_4) | instskip(SKIP_3) | instid1(VALU_DEP_4)
	v_dual_fmac_f32 v79, 0x3f4c4adb, v3 :: v_dual_add_f32 v72, v74, v72
	v_fmac_f32_e32 v78, 0x3f763a35, v1
	v_add_f32_e32 v6, v7, v6
	v_add_f32_e32 v7, v51, v61
	;; [unrolled: 1-line block ×3, first 2 shown]
	v_fmamk_f32 v79, v13, 0x3f763a35, v80
	v_mul_f32_e32 v75, 0x3f3d2fb0, v53
	s_delay_alu instid0(VALU_DEP_3) | instskip(NEXT) | instid1(VALU_DEP_2)
	v_dual_add_f32 v71, v76, v71 :: v_dual_fmamk_f32 v76, v3, 0x3f06c442, v84
	v_fmamk_f32 v74, v8, 0xbf2c7751, v75
	s_delay_alu instid0(VALU_DEP_1) | instskip(NEXT) | instid1(VALU_DEP_1)
	v_dual_add_f32 v72, v74, v72 :: v_dual_fmac_f32 v77, 0xbe3c28d5, v5
	v_dual_add_f32 v72, v79, v72 :: v_dual_add_f32 v71, v77, v71
	v_fmac_f32_e32 v75, 0x3f2c7751, v8
	v_mul_f32_e32 v77, 0x3f3d2fb0, v57
	s_delay_alu instid0(VALU_DEP_2) | instskip(NEXT) | instid1(VALU_DEP_2)
	v_add_f32_e32 v71, v75, v71
	v_fmamk_f32 v75, v5, 0x3f2c7751, v77
	v_fmac_f32_e32 v77, 0xbf2c7751, v5
	v_fmamk_f32 v74, v0, 0x3f4c4adb, v82
	v_mul_f32_e32 v79, 0x3dbcf732, v59
	v_fmac_f32_e32 v82, 0xbf4c4adb, v0
	s_delay_alu instid0(VALU_DEP_3) | instskip(NEXT) | instid1(VALU_DEP_1)
	v_add_f32_e32 v74, v9, v74
	v_add_f32_e32 v74, v74, v81
	v_fmamk_f32 v81, v2, 0x3eb8f4ab, v83
	v_fmac_f32_e32 v83, 0xbeb8f4ab, v2
	s_delay_alu instid0(VALU_DEP_2) | instskip(SKIP_1) | instid1(VALU_DEP_2)
	v_add_f32_e32 v74, v81, v74
	v_dual_add_f32 v81, v9, v82 :: v_dual_mul_f32 v82, 0x3ee437d1, v52
	v_add_f32_e32 v74, v76, v74
	v_fmamk_f32 v76, v4, 0xbf7ee86f, v79
	s_delay_alu instid0(VALU_DEP_3) | instskip(SKIP_1) | instid1(VALU_DEP_3)
	v_dual_add_f32 v78, v81, v78 :: v_dual_mul_f32 v81, 0xbe8c1d8e, v68
	v_fmac_f32_e32 v80, 0xbf763a35, v13
	v_add_f32_e32 v74, v76, v74
	v_mul_f32_e32 v76, 0xbf7ba420, v53
	s_delay_alu instid0(VALU_DEP_4) | instskip(NEXT) | instid1(VALU_DEP_2)
	v_add_f32_e32 v78, v83, v78
	v_dual_add_f32 v74, v75, v74 :: v_dual_fmamk_f32 v75, v8, 0x3e3c28d5, v76
	s_delay_alu instid0(VALU_DEP_1) | instskip(SKIP_3) | instid1(VALU_DEP_3)
	v_dual_fmac_f32 v79, 0x3f7ee86f, v4 :: v_dual_add_f32 v74, v75, v74
	v_fmamk_f32 v75, v0, 0x3f763a35, v81
	v_fmac_f32_e32 v81, 0xbf763a35, v0
	v_dual_add_f32 v71, v80, v71 :: v_dual_mul_f32 v80, 0xbf59a7d5, v69
	v_add_f32_e32 v75, v9, v75
	s_delay_alu instid0(VALU_DEP_3) | instskip(NEXT) | instid1(VALU_DEP_1)
	v_dual_add_f32 v81, v9, v81 :: v_dual_fmac_f32 v84, 0xbf06c442, v3
	v_dual_add_f32 v78, v84, v78 :: v_dual_fmamk_f32 v83, v1, 0xbf06c442, v80
	s_delay_alu instid0(VALU_DEP_1) | instskip(NEXT) | instid1(VALU_DEP_2)
	v_dual_add_f32 v78, v79, v78 :: v_dual_fmamk_f32 v79, v13, 0xbf65296c, v82
	v_add_f32_e32 v75, v75, v83
	s_delay_alu instid0(VALU_DEP_2) | instskip(NEXT) | instid1(VALU_DEP_3)
	v_add_f32_e32 v74, v79, v74
	v_add_f32_e32 v77, v77, v78
	v_mul_f32_e32 v79, 0xbf7ba420, v59
	v_fmac_f32_e32 v76, 0xbe3c28d5, v8
	v_fmamk_f32 v78, v3, 0x3f65296c, v85
	s_delay_alu instid0(VALU_DEP_2) | instskip(NEXT) | instid1(VALU_DEP_4)
	v_add_f32_e32 v76, v76, v77
	v_fmamk_f32 v77, v4, 0x3e3c28d5, v79
	v_fmac_f32_e32 v79, 0xbe3c28d5, v4
	v_mul_f32_e32 v84, 0x3f3d2fb0, v54
	s_delay_alu instid0(VALU_DEP_1) | instskip(NEXT) | instid1(VALU_DEP_1)
	v_fmamk_f32 v83, v2, 0xbf2c7751, v84
	v_dual_fmac_f32 v84, 0x3f2c7751, v2 :: v_dual_add_f32 v75, v83, v75
	v_mul_f32_e32 v83, 0x3f6eb680, v53
	s_delay_alu instid0(VALU_DEP_2) | instskip(NEXT) | instid1(VALU_DEP_1)
	v_dual_add_f32 v75, v78, v75 :: v_dual_mul_f32 v78, 0x3dbcf732, v57
	v_dual_fmamk_f32 v86, v8, 0x3eb8f4ab, v83 :: v_dual_add_f32 v75, v77, v75
	s_delay_alu instid0(VALU_DEP_2) | instskip(NEXT) | instid1(VALU_DEP_1)
	v_fmamk_f32 v77, v5, 0xbf7ee86f, v78
	v_dual_fmac_f32 v78, 0x3f7ee86f, v5 :: v_dual_add_f32 v75, v77, v75
	s_delay_alu instid0(VALU_DEP_1) | instskip(SKIP_1) | instid1(VALU_DEP_2)
	v_dual_add_f32 v75, v86, v75 :: v_dual_fmac_f32 v80, 0x3f06c442, v1
	v_mul_f32_e32 v86, 0xbf1a4643, v52
	v_add_f32_e32 v80, v81, v80
	s_delay_alu instid0(VALU_DEP_2) | instskip(SKIP_2) | instid1(VALU_DEP_4)
	v_fmamk_f32 v88, v13, 0x3f4c4adb, v86
	v_fmac_f32_e32 v82, 0x3f65296c, v13
	v_fmac_f32_e32 v86, 0xbf4c4adb, v13
	v_add_f32_e32 v80, v84, v80
	v_fmac_f32_e32 v83, 0xbeb8f4ab, v8
	v_fmac_f32_e32 v85, 0xbf65296c, v3
	v_mul_f32_e32 v81, 0xbf7ba420, v69
	v_dual_add_f32 v75, v88, v75 :: v_dual_add_f32 v76, v82, v76
	s_delay_alu instid0(VALU_DEP_3) | instskip(NEXT) | instid1(VALU_DEP_3)
	v_dual_add_f32 v80, v85, v80 :: v_dual_mul_f32 v85, 0x3f6eb680, v55
	v_fmamk_f32 v84, v1, 0x3e3c28d5, v81
	v_fmac_f32_e32 v81, 0xbe3c28d5, v1
	s_delay_alu instid0(VALU_DEP_3) | instskip(NEXT) | instid1(VALU_DEP_4)
	v_add_f32_e32 v79, v79, v80
	v_fmamk_f32 v80, v3, 0xbeb8f4ab, v85
	v_mul_f32_e32 v82, 0x3dbcf732, v68
	s_delay_alu instid0(VALU_DEP_1) | instskip(NEXT) | instid1(VALU_DEP_1)
	v_dual_add_f32 v78, v78, v79 :: v_dual_fmamk_f32 v77, v0, 0x3f7ee86f, v82
	v_dual_add_f32 v78, v83, v78 :: v_dual_mul_f32 v83, 0xbf1a4643, v53
	s_delay_alu instid0(VALU_DEP_1) | instskip(NEXT) | instid1(VALU_DEP_1)
	v_dual_add_f32 v77, v9, v77 :: v_dual_add_f32 v78, v86, v78
	v_dual_fmamk_f32 v88, v8, 0xbf4c4adb, v83 :: v_dual_add_f32 v77, v77, v84
	v_fmamk_f32 v84, v2, 0xbf763a35, v87
	v_fmac_f32_e32 v87, 0x3f763a35, v2
	v_mul_f32_e32 v86, 0xbf1a4643, v69
	v_fmac_f32_e32 v83, 0x3f4c4adb, v8
	v_fmac_f32_e32 v85, 0x3eb8f4ab, v3
	v_dual_add_f32 v77, v84, v77 :: v_dual_mul_f32 v84, 0x3ee437d1, v59
	v_mul_f32_e32 v69, 0x3dbcf732, v69
	s_delay_alu instid0(VALU_DEP_2) | instskip(SKIP_1) | instid1(VALU_DEP_3)
	v_dual_add_f32 v77, v80, v77 :: v_dual_fmac_f32 v82, 0xbf7ee86f, v0
	v_mul_f32_e32 v80, 0xbf59a7d5, v57
	v_fmamk_f32 v91, v1, 0x3f7ee86f, v69
	s_delay_alu instid0(VALU_DEP_3) | instskip(NEXT) | instid1(VALU_DEP_1)
	v_dual_fmac_f32 v69, 0xbf7ee86f, v1 :: v_dual_add_f32 v82, v9, v82
	v_add_f32_e32 v81, v82, v81
	s_delay_alu instid0(VALU_DEP_1) | instskip(SKIP_2) | instid1(VALU_DEP_3)
	v_add_f32_e32 v81, v87, v81
	v_fmamk_f32 v87, v1, 0x3f4c4adb, v86
	v_fmamk_f32 v79, v4, 0x3f65296c, v84
	v_add_f32_e32 v81, v85, v81
	s_delay_alu instid0(VALU_DEP_2) | instskip(SKIP_1) | instid1(VALU_DEP_1)
	v_add_f32_e32 v77, v79, v77
	v_fmamk_f32 v79, v5, 0x3f06c442, v80
	v_add_f32_e32 v77, v79, v77
	v_mul_f32_e32 v79, 0x3ee437d1, v68
	v_mul_f32_e32 v68, 0x3f3d2fb0, v68
	s_delay_alu instid0(VALU_DEP_3) | instskip(NEXT) | instid1(VALU_DEP_3)
	v_dual_fmac_f32 v84, 0xbf65296c, v4 :: v_dual_add_f32 v77, v88, v77
	v_fmamk_f32 v82, v0, 0x3f65296c, v79
	s_delay_alu instid0(VALU_DEP_2) | instskip(SKIP_1) | instid1(VALU_DEP_3)
	v_dual_mul_f32 v88, 0xbf7ba420, v54 :: v_dual_add_f32 v81, v84, v81
	v_fmac_f32_e32 v79, 0xbf65296c, v0
	v_dual_add_f32 v77, v90, v77 :: v_dual_add_f32 v82, v9, v82
	s_delay_alu instid0(VALU_DEP_3) | instskip(NEXT) | instid1(VALU_DEP_3)
	v_fmamk_f32 v85, v2, 0xbe3c28d5, v88
	v_dual_mul_f32 v54, 0xbf1a4643, v54 :: v_dual_add_f32 v79, v9, v79
	s_delay_alu instid0(VALU_DEP_3) | instskip(SKIP_1) | instid1(VALU_DEP_2)
	v_add_f32_e32 v82, v82, v87
	v_mul_f32_e32 v87, 0xbe8c1d8e, v55
	v_dual_mul_f32 v55, 0xbf7ba420, v55 :: v_dual_add_f32 v82, v85, v82
	v_mul_f32_e32 v85, 0x3f3d2fb0, v59
	v_fmamk_f32 v90, v0, 0x3f2c7751, v68
	v_fmac_f32_e32 v68, 0xbf2c7751, v0
	v_mul_f32_e32 v0, 0xbe8c1d8e, v57
	v_fmamk_f32 v84, v3, 0xbf763a35, v87
	s_delay_alu instid0(VALU_DEP_4) | instskip(SKIP_2) | instid1(VALU_DEP_1)
	v_dual_fmac_f32 v87, 0x3f763a35, v3 :: v_dual_add_f32 v90, v9, v90
	v_fmac_f32_e32 v89, 0x3f2c7751, v13
	v_fmac_f32_e32 v80, 0xbf06c442, v5
	v_dual_mul_f32 v59, 0xbf59a7d5, v59 :: v_dual_add_f32 v80, v80, v81
	v_add_f32_e32 v81, v84, v82
	v_fmamk_f32 v82, v4, 0xbf2c7751, v85
	v_mul_f32_e32 v84, 0x3f6eb680, v57
	v_fmac_f32_e32 v85, 0x3f2c7751, v4
	s_delay_alu instid0(VALU_DEP_2) | instskip(SKIP_2) | instid1(VALU_DEP_3)
	v_dual_add_f32 v81, v82, v81 :: v_dual_fmamk_f32 v82, v5, 0x3eb8f4ab, v84
	v_fmac_f32_e32 v84, 0xbeb8f4ab, v5
	v_fmac_f32_e32 v86, 0xbf4c4adb, v1
	v_dual_fmac_f32 v88, 0x3e3c28d5, v2 :: v_dual_add_f32 v81, v82, v81
	s_delay_alu instid0(VALU_DEP_2) | instskip(NEXT) | instid1(VALU_DEP_1)
	v_add_f32_e32 v79, v79, v86
	v_add_f32_e32 v79, v88, v79
	s_delay_alu instid0(VALU_DEP_1) | instskip(SKIP_2) | instid1(VALU_DEP_3)
	v_add_f32_e32 v79, v87, v79
	v_add_f32_e32 v87, v9, v25
	;; [unrolled: 1-line block ×4, first 2 shown]
	s_delay_alu instid0(VALU_DEP_3)
	v_add_f32_e32 v87, v87, v21
	v_add_f32_e32 v85, v90, v91
	v_fmamk_f32 v90, v2, 0x3f4c4adb, v54
	v_add_f32_e32 v80, v83, v80
	v_mul_f32_e32 v83, 0xbf59a7d5, v52
	v_add_f32_e32 v87, v87, v14
	s_delay_alu instid0(VALU_DEP_4) | instskip(NEXT) | instid1(VALU_DEP_2)
	v_dual_add_f32 v79, v84, v79 :: v_dual_add_f32 v84, v90, v85
	v_dual_fmamk_f32 v88, v13, 0x3f06c442, v83 :: v_dual_add_f32 v85, v87, v29
	v_fmamk_f32 v87, v3, 0x3e3c28d5, v55
	v_fmac_f32_e32 v83, 0xbf06c442, v13
	v_mul_f32_e32 v82, 0x3dbcf732, v53
	s_delay_alu instid0(VALU_DEP_3) | instskip(NEXT) | instid1(VALU_DEP_2)
	v_add_f32_e32 v84, v87, v84
	v_fmamk_f32 v86, v8, 0x3f7ee86f, v82
	v_fmac_f32_e32 v82, 0xbf7ee86f, v8
	s_delay_alu instid0(VALU_DEP_1) | instskip(SKIP_2) | instid1(VALU_DEP_3)
	v_add_f32_e32 v79, v82, v79
	v_dual_add_f32 v82, v85, v27 :: v_dual_fmamk_f32 v85, v4, 0xbf06c442, v59
	v_fmac_f32_e32 v59, 0x3f06c442, v4
	v_add_f32_e32 v79, v83, v79
	s_delay_alu instid0(VALU_DEP_3) | instskip(SKIP_3) | instid1(VALU_DEP_4)
	v_dual_add_f32 v82, v82, v23 :: v_dual_add_f32 v67, v85, v84
	v_add_f32_e32 v81, v86, v81
	v_fmac_f32_e32 v55, 0xbe3c28d5, v3
	v_mul_f32_e32 v3, 0x3ee437d1, v53
	v_dual_add_f32 v57, v82, v19 :: v_dual_fmac_f32 v54, 0xbf4c4adb, v2
	s_delay_alu instid0(VALU_DEP_1) | instskip(SKIP_2) | instid1(VALU_DEP_3)
	v_dual_fmamk_f32 v4, v8, 0xbf65296c, v3 :: v_dual_add_f32 v1, v57, v37
	v_fmac_f32_e32 v3, 0x3f65296c, v8
	v_add_f32_e32 v9, v9, v69
	v_add_f32_e32 v1, v1, v35
	s_delay_alu instid0(VALU_DEP_2) | instskip(NEXT) | instid1(VALU_DEP_1)
	v_add_f32_e32 v9, v54, v9
	v_add_f32_e32 v9, v55, v9
	s_delay_alu instid0(VALU_DEP_1) | instskip(SKIP_2) | instid1(VALU_DEP_1)
	v_add_f32_e32 v9, v59, v9
	v_fmamk_f32 v57, v5, 0xbf763a35, v0
	v_fmac_f32_e32 v0, 0x3f763a35, v5
	v_dual_mul_f32 v5, 0x3f6eb680, v52 :: v_dual_add_f32 v0, v0, v9
	s_delay_alu instid0(VALU_DEP_3) | instskip(SKIP_1) | instid1(VALU_DEP_3)
	v_add_f32_e32 v2, v57, v67
	v_add_f32_e32 v1, v1, v33
	v_fmamk_f32 v8, v13, 0xbeb8f4ab, v5
	s_delay_alu instid0(VALU_DEP_4) | instskip(NEXT) | instid1(VALU_DEP_3)
	v_dual_fmac_f32 v5, 0x3eb8f4ab, v13 :: v_dual_add_f32 v0, v3, v0
	v_dual_add_f32 v2, v4, v2 :: v_dual_add_f32 v1, v1, v31
	v_add_f32_e32 v3, v7, v6
	v_mad_u32_u24 v4, 0x44, v56, 0
	s_delay_alu instid0(VALU_DEP_4) | instskip(SKIP_2) | instid1(VALU_DEP_1)
	v_add_f32_e32 v0, v5, v0
	v_add_f32_e32 v5, v89, v80
	v_dual_add_f32 v1, v1, v47 :: v_dual_add_f32 v6, v88, v81
	v_dual_add_f32 v2, v8, v2 :: v_dual_add_f32 v1, v1, v45
	s_delay_alu instid0(VALU_DEP_1) | instskip(NEXT) | instid1(VALU_DEP_1)
	v_add_f32_e32 v1, v1, v41
	v_add_f32_e32 v1, v1, v43
	s_delay_alu instid0(VALU_DEP_1)
	v_add_f32_e32 v1, v39, v1
	ds_store_2addr_b32 v4, v1, v3 offset1:1
	ds_store_2addr_b32 v4, v0, v79 offset0:2 offset1:3
	ds_store_2addr_b32 v4, v5, v78 offset0:4 offset1:5
	;; [unrolled: 1-line block ×7, first 2 shown]
	ds_store_b32 v4, v58 offset:64
.LBB0_13:
	s_wait_alu 0xfffe
	s_or_b32 exec_lo, exec_lo, s1
	v_dual_sub_f32 v70, v25, v39 :: v_dual_add_f32 v67, v26, v40
	v_dual_add_f32 v60, v22, v44 :: v_dual_sub_f32 v61, v21, v43
	v_dual_add_f32 v54, v15, v42 :: v_dual_sub_f32 v55, v14, v41
	s_delay_alu instid0(VALU_DEP_3) | instskip(NEXT) | instid1(VALU_DEP_3)
	v_dual_mul_f32 v69, 0xbeb8f4ab, v70 :: v_dual_sub_f32 v52, v29, v45
	v_dual_add_f32 v51, v30, v46 :: v_dual_mul_f32 v68, 0xbf2c7751, v61
	s_delay_alu instid0(VALU_DEP_2) | instskip(SKIP_2) | instid1(VALU_DEP_3)
	v_dual_add_f32 v49, v28, v48 :: v_dual_fmamk_f32 v0, v67, 0x3f6eb680, v69
	v_sub_f32_e32 v50, v27, v47
	v_dual_mul_f32 v62, 0xbf65296c, v55 :: v_dual_add_f32 v39, v24, v32
	v_dual_fmamk_f32 v1, v60, 0x3f3d2fb0, v68 :: v_dual_add_f32 v0, v10, v0
	v_sub_f32_e32 v47, v23, v31
	v_mul_f32_e32 v59, 0xbf7ee86f, v52
	s_delay_alu instid0(VALU_DEP_4) | instskip(NEXT) | instid1(VALU_DEP_4)
	v_dual_fmamk_f32 v2, v54, 0x3ee437d1, v62 :: v_dual_add_f32 v27, v20, v34
	v_add_f32_e32 v0, v0, v1
	v_sub_f32_e32 v29, v19, v33
	s_delay_alu instid0(VALU_DEP_4) | instskip(SKIP_1) | instid1(VALU_DEP_4)
	v_fmamk_f32 v1, v51, 0x3dbcf732, v59
	v_lshl_add_u32 v57, v56, 2, 0
	v_dual_sub_f32 v23, v37, v35 :: v_dual_add_f32 v0, v2, v0
	v_mul_f32_e32 v53, 0xbf763a35, v50
	v_mul_f32_e32 v35, 0xbf4c4adb, v47
	s_delay_alu instid0(VALU_DEP_4)
	v_add_nc_u32_e32 v43, 0xe00, v57
	v_add_nc_u32_e32 v64, 0xc00, v57
	v_add_f32_e32 v0, v1, v0
	v_fmamk_f32 v2, v49, 0xbe8c1d8e, v53
	v_add_nc_u32_e32 v41, 0x400, v57
	v_add_nc_u32_e32 v21, 0x200, v57
	;; [unrolled: 1-line block ×4, first 2 shown]
	v_dual_add_f32 v31, v2, v0 :: v_dual_add_nc_u32 v66, 0x1400, v57
	global_wb scope:SCOPE_SE
	s_wait_dscnt 0x0
	s_barrier_signal -1
	s_barrier_wait -1
	global_inv scope:SCOPE_SE
	ds_load_2addr_b32 v[2:3], v57 offset1:102
	ds_load_2addr_b32 v[18:19], v64 offset0:48 offset1:150
	ds_load_2addr_b32 v[0:1], v21 offset0:76 offset1:178
	;; [unrolled: 1-line block ×7, first 2 shown]
	v_mul_f32_e32 v33, 0xbf06c442, v29
	v_fmamk_f32 v25, v39, 0xbf1a4643, v35
	global_wb scope:SCOPE_SE
	s_wait_dscnt 0x0
	s_barrier_signal -1
	s_barrier_wait -1
	v_fmamk_f32 v63, v27, 0xbf59a7d5, v33
	v_add_f32_e32 v37, v25, v31
	v_add_f32_e32 v25, v38, v36
	v_mul_f32_e32 v31, 0xbe3c28d5, v23
	global_inv scope:SCOPE_SE
	v_add_f32_e32 v37, v63, v37
	v_fmamk_f32 v63, v25, 0xbf7ba420, v31
	s_delay_alu instid0(VALU_DEP_1)
	v_add_f32_e32 v63, v63, v37
	s_and_saveexec_b32 s1, s0
	s_cbranch_execz .LBB0_15
; %bb.14:
	v_dual_add_f32 v26, v10, v26 :: v_dual_mul_f32 v37, 0x3f6eb680, v67
	v_mul_f32_e32 v71, 0x3f3d2fb0, v60
	v_dual_mul_f32 v78, 0xbf7ee86f, v70 :: v_dual_mul_f32 v81, 0xbf7ee86f, v61
	s_delay_alu instid0(VALU_DEP_3) | instskip(NEXT) | instid1(VALU_DEP_4)
	v_add_f32_e32 v26, v26, v22
	v_dual_mul_f32 v72, 0x3ee437d1, v54 :: v_dual_sub_f32 v37, v37, v69
	v_mul_f32_e32 v73, 0x3dbcf732, v51
	s_delay_alu instid0(VALU_DEP_3) | instskip(SKIP_1) | instid1(VALU_DEP_2)
	v_dual_add_f32 v15, v26, v15 :: v_dual_mul_f32 v74, 0xbe8c1d8e, v49
	v_mul_f32_e32 v26, 0xbf2c7751, v70
	v_dual_add_f32 v15, v15, v30 :: v_dual_mul_f32 v76, 0xbf59a7d5, v27
	s_delay_alu instid0(VALU_DEP_1) | instskip(NEXT) | instid1(VALU_DEP_2)
	v_dual_add_f32 v15, v15, v28 :: v_dual_mul_f32 v22, 0xbf7ba420, v25
	v_sub_f32_e32 v33, v76, v33
	s_delay_alu instid0(VALU_DEP_2) | instskip(SKIP_1) | instid1(VALU_DEP_4)
	v_dual_add_f32 v15, v15, v24 :: v_dual_mul_f32 v30, 0xbf4c4adb, v70
	v_fma_f32 v24, 0x3f3d2fb0, v67, -v26
	v_dual_mul_f32 v77, 0xbf65296c, v70 :: v_dual_sub_f32 v22, v22, v31
	s_delay_alu instid0(VALU_DEP_3) | instskip(SKIP_1) | instid1(VALU_DEP_4)
	v_dual_add_f32 v15, v15, v20 :: v_dual_mul_f32 v28, 0xbf4c4adb, v61
	v_fma_f32 v20, 0x3dbcf732, v67, -v78
	v_add_f32_e32 v24, v10, v24
	s_delay_alu instid0(VALU_DEP_4) | instskip(NEXT) | instid1(VALU_DEP_4)
	v_fma_f32 v69, 0x3ee437d1, v67, -v77
	v_add_f32_e32 v15, v15, v38
	v_mul_f32_e32 v80, 0xbf06c442, v70
	v_dual_fmac_f32 v77, 0x3ee437d1, v67 :: v_dual_add_f32 v20, v10, v20
	v_mul_f32_e32 v79, 0xbf763a35, v70
	s_delay_alu instid0(VALU_DEP_4) | instskip(SKIP_2) | instid1(VALU_DEP_3)
	v_dual_add_f32 v15, v15, v36 :: v_dual_mul_f32 v82, 0xbe3c28d5, v61
	v_mul_f32_e32 v70, 0xbe3c28d5, v70
	v_fma_f32 v38, 0xbf1a4643, v67, -v30
	v_dual_fmac_f32 v78, 0x3dbcf732, v67 :: v_dual_add_f32 v15, v15, v34
	v_fmac_f32_e32 v26, 0x3f3d2fb0, v67
	v_fma_f32 v85, 0xbf59a7d5, v67, -v80
	v_fmac_f32_e32 v80, 0xbf59a7d5, v67
	v_fma_f32 v36, 0xbf7ba420, v67, -v70
	v_dual_add_f32 v15, v15, v32 :: v_dual_fmac_f32 v30, 0xbf1a4643, v67
	v_fmac_f32_e32 v70, 0xbf7ba420, v67
	v_dual_mul_f32 v83, 0x3f06c442, v61 :: v_dual_add_f32 v26, v10, v26
	s_delay_alu instid0(VALU_DEP_3)
	v_dual_add_f32 v15, v15, v48 :: v_dual_add_f32 v48, v10, v77
	v_fma_f32 v84, 0xbe8c1d8e, v67, -v79
	v_fmac_f32_e32 v79, 0xbe8c1d8e, v67
	v_sub_f32_e32 v67, v71, v68
	v_fma_f32 v71, 0xbf7ba420, v60, -v82
	v_dual_fmac_f32 v82, 0xbf7ba420, v60 :: v_dual_add_f32 v15, v15, v46
	v_fma_f32 v34, 0xbf1a4643, v60, -v28
	v_add_f32_e32 v32, v10, v37
	v_add_f32_e32 v37, v10, v69
	v_dual_mul_f32 v75, 0xbf1a4643, v39 :: v_dual_fmac_f32 v28, 0xbf1a4643, v60
	v_dual_add_f32 v15, v15, v42 :: v_dual_add_f32 v42, v10, v85
	v_add_f32_e32 v38, v10, v38
	v_add_f32_e32 v46, v10, v84
	s_delay_alu instid0(VALU_DEP_3) | instskip(SKIP_3) | instid1(VALU_DEP_4)
	v_dual_add_f32 v34, v37, v34 :: v_dual_add_f32 v15, v15, v44
	v_add_f32_e32 v30, v10, v30
	v_fma_f32 v37, 0xbf59a7d5, v60, -v83
	v_fma_f32 v68, 0x3dbcf732, v60, -v81
	v_dual_add_f32 v36, v10, v36 :: v_dual_add_f32 v15, v40, v15
	v_mul_f32_e32 v40, 0x3f763a35, v61
	s_delay_alu instid0(VALU_DEP_4) | instskip(SKIP_1) | instid1(VALU_DEP_3)
	v_dual_add_f32 v28, v48, v28 :: v_dual_add_f32 v37, v46, v37
	v_dual_mul_f32 v46, 0x3f65296c, v61 :: v_dual_sub_f32 v35, v75, v35
	v_fma_f32 v48, 0xbe8c1d8e, v60, -v40
	v_fmac_f32_e32 v40, 0xbe8c1d8e, v60
	v_mul_f32_e32 v61, 0x3eb8f4ab, v61
	v_fmac_f32_e32 v81, 0x3dbcf732, v60
	v_add_f32_e32 v69, v10, v78
	v_dual_add_f32 v77, v10, v79 :: v_dual_add_f32 v24, v24, v68
	v_dual_add_f32 v32, v32, v67 :: v_dual_fmac_f32 v83, 0xbf59a7d5, v60
	v_add_f32_e32 v78, v10, v80
	v_add_f32_e32 v10, v10, v70
	;; [unrolled: 1-line block ×4, first 2 shown]
	v_fma_f32 v40, 0x3f6eb680, v60, -v61
	v_mul_f32_e32 v48, 0xbf4c4adb, v55
	v_dual_fmac_f32 v61, 0x3f6eb680, v60 :: v_dual_add_f32 v26, v26, v81
	v_fma_f32 v68, 0x3ee437d1, v60, -v46
	v_fmac_f32_e32 v46, 0x3ee437d1, v60
	v_add_f32_e32 v36, v36, v40
	v_sub_f32_e32 v40, v72, v62
	v_fma_f32 v60, 0xbf1a4643, v54, -v48
	v_dual_add_f32 v10, v10, v61 :: v_dual_mul_f32 v61, 0x3e3c28d5, v55
	v_fmac_f32_e32 v48, 0xbf1a4643, v54
	s_delay_alu instid0(VALU_DEP_4) | instskip(NEXT) | instid1(VALU_DEP_4)
	v_add_f32_e32 v32, v40, v32
	v_add_f32_e32 v24, v60, v24
	v_mul_f32_e32 v40, 0x3f763a35, v55
	v_fma_f32 v60, 0xbf7ba420, v54, -v61
	v_add_f32_e32 v26, v48, v26
	v_fmac_f32_e32 v61, 0xbf7ba420, v54
	v_mul_f32_e32 v48, 0x3f2c7751, v55
	v_add_f32_e32 v44, v69, v82
	v_fma_f32 v62, 0xbe8c1d8e, v54, -v40
	v_add_f32_e32 v34, v60, v34
	v_fmac_f32_e32 v40, 0xbe8c1d8e, v54
	v_add_f32_e32 v28, v61, v28
	v_fma_f32 v60, 0x3f3d2fb0, v54, -v48
	v_mul_f32_e32 v61, 0xbeb8f4ab, v55
	v_add_f32_e32 v20, v20, v71
	v_add_f32_e32 v40, v40, v44
	s_delay_alu instid0(VALU_DEP_4) | instskip(NEXT) | instid1(VALU_DEP_4)
	v_dual_mul_f32 v44, 0xbf7ee86f, v55 :: v_dual_add_f32 v37, v60, v37
	v_fma_f32 v60, 0x3f6eb680, v54, -v61
	v_fmac_f32_e32 v61, 0x3f6eb680, v54
	v_mul_f32_e32 v55, 0xbf06c442, v55
	v_dual_add_f32 v67, v77, v83 :: v_dual_add_f32 v46, v78, v46
	s_delay_alu instid0(VALU_DEP_4) | instskip(SKIP_1) | instid1(VALU_DEP_4)
	v_add_f32_e32 v38, v60, v38
	v_add_f32_e32 v20, v62, v20
	v_fma_f32 v60, 0xbf59a7d5, v54, -v55
	v_fmac_f32_e32 v55, 0xbf59a7d5, v54
	v_dual_add_f32 v30, v61, v30 :: v_dual_mul_f32 v61, 0xbe3c28d5, v52
	v_fmac_f32_e32 v48, 0x3f3d2fb0, v54
	v_fma_f32 v62, 0x3dbcf732, v54, -v44
	v_fmac_f32_e32 v44, 0x3dbcf732, v54
	v_add_f32_e32 v10, v55, v10
	v_fma_f32 v54, 0xbf7ba420, v51, -v61
	v_dual_mul_f32 v55, 0x3f763a35, v52 :: v_dual_add_f32 v48, v48, v67
	s_delay_alu instid0(VALU_DEP_4) | instskip(SKIP_1) | instid1(VALU_DEP_4)
	v_add_f32_e32 v44, v44, v46
	v_sub_f32_e32 v46, v73, v59
	v_add_f32_e32 v24, v54, v24
	s_delay_alu instid0(VALU_DEP_4)
	v_fma_f32 v54, 0xbe8c1d8e, v51, -v55
	v_fmac_f32_e32 v55, 0xbe8c1d8e, v51
	v_mul_f32_e32 v59, 0xbf65296c, v52
	v_add_f32_e32 v36, v60, v36
	v_dual_add_f32 v42, v42, v68 :: v_dual_fmac_f32 v61, 0xbf7ba420, v51
	v_add_f32_e32 v34, v54, v34
	v_add_f32_e32 v28, v55, v28
	v_fma_f32 v54, 0x3ee437d1, v51, -v59
	v_mul_f32_e32 v55, 0xbf06c442, v52
	v_dual_fmac_f32 v59, 0x3ee437d1, v51 :: v_dual_add_f32 v42, v62, v42
	s_delay_alu instid0(VALU_DEP_3) | instskip(NEXT) | instid1(VALU_DEP_3)
	v_add_f32_e32 v37, v54, v37
	v_fma_f32 v54, 0xbf59a7d5, v51, -v55
	v_dual_fmac_f32 v55, 0xbf59a7d5, v51 :: v_dual_add_f32 v32, v46, v32
	v_mul_f32_e32 v46, 0x3eb8f4ab, v52
	v_add_f32_e32 v48, v59, v48
	s_delay_alu instid0(VALU_DEP_4) | instskip(NEXT) | instid1(VALU_DEP_4)
	v_add_f32_e32 v38, v54, v38
	v_add_f32_e32 v30, v55, v30
	v_mul_f32_e32 v55, 0x3f06c442, v50
	v_fma_f32 v60, 0x3f6eb680, v51, -v46
	v_fmac_f32_e32 v46, 0x3f6eb680, v51
	s_delay_alu instid0(VALU_DEP_1) | instskip(SKIP_2) | instid1(VALU_DEP_2)
	v_add_f32_e32 v40, v46, v40
	v_mul_f32_e32 v46, 0x3f4c4adb, v52
	v_mul_f32_e32 v52, 0x3f2c7751, v52
	v_fma_f32 v59, 0xbf1a4643, v51, -v46
	v_fmac_f32_e32 v46, 0xbf1a4643, v51
	s_delay_alu instid0(VALU_DEP_3) | instskip(SKIP_2) | instid1(VALU_DEP_4)
	v_fma_f32 v54, 0x3f3d2fb0, v51, -v52
	v_fmac_f32_e32 v52, 0x3f3d2fb0, v51
	v_fma_f32 v51, 0xbf59a7d5, v49, -v55
	v_dual_fmac_f32 v55, 0xbf59a7d5, v49 :: v_dual_add_f32 v44, v46, v44
	v_sub_f32_e32 v46, v74, v53
	s_delay_alu instid0(VALU_DEP_4) | instskip(SKIP_2) | instid1(VALU_DEP_4)
	v_add_f32_e32 v10, v52, v10
	v_mul_f32_e32 v52, 0x3f2c7751, v50
	v_dual_add_f32 v24, v51, v24 :: v_dual_mul_f32 v53, 0xbe3c28d5, v50
	v_add_f32_e32 v32, v46, v32
	v_mul_f32_e32 v46, 0xbf65296c, v50
	s_delay_alu instid0(VALU_DEP_4)
	v_fma_f32 v51, 0x3f3d2fb0, v49, -v52
	v_fmac_f32_e32 v52, 0x3f3d2fb0, v49
	v_add_f32_e32 v36, v54, v36
	v_add_f32_e32 v32, v35, v32
	v_fma_f32 v54, 0x3ee437d1, v49, -v46
	v_add_f32_e32 v34, v51, v34
	v_fmac_f32_e32 v46, 0x3ee437d1, v49
	v_add_f32_e32 v28, v52, v28
	v_fma_f32 v51, 0xbf7ba420, v49, -v53
	v_mul_f32_e32 v52, 0x3f7ee86f, v50
	s_delay_alu instid0(VALU_DEP_4) | instskip(NEXT) | instid1(VALU_DEP_3)
	v_dual_fmac_f32 v53, 0xbf7ba420, v49 :: v_dual_add_f32 v40, v46, v40
	v_dual_mul_f32 v46, 0xbeb8f4ab, v50 :: v_dual_add_f32 v37, v51, v37
	s_delay_alu instid0(VALU_DEP_3)
	v_fma_f32 v51, 0x3dbcf732, v49, -v52
	v_mul_f32_e32 v50, 0xbf4c4adb, v50
	v_fmac_f32_e32 v52, 0x3dbcf732, v49
	v_add_f32_e32 v48, v53, v48
	v_fma_f32 v53, 0x3f6eb680, v49, -v46
	v_add_f32_e32 v38, v51, v38
	v_fmac_f32_e32 v46, 0x3f6eb680, v49
	v_fma_f32 v51, 0xbf1a4643, v49, -v50
	v_fmac_f32_e32 v50, 0xbf1a4643, v49
	v_dual_mul_f32 v49, 0x3f763a35, v47 :: v_dual_add_f32 v20, v60, v20
	s_delay_alu instid0(VALU_DEP_4) | instskip(NEXT) | instid1(VALU_DEP_4)
	v_add_f32_e32 v44, v46, v44
	v_add_f32_e32 v36, v51, v36
	s_delay_alu instid0(VALU_DEP_4) | instskip(NEXT) | instid1(VALU_DEP_4)
	v_add_f32_e32 v10, v50, v10
	v_fma_f32 v46, 0xbe8c1d8e, v39, -v49
	v_mul_f32_e32 v50, 0xbeb8f4ab, v47
	v_mul_f32_e32 v51, 0x3f7ee86f, v47
	v_fmac_f32_e32 v49, 0xbe8c1d8e, v39
	s_delay_alu instid0(VALU_DEP_4) | instskip(NEXT) | instid1(VALU_DEP_4)
	v_dual_mul_f32 v35, 0xbf06c442, v47 :: v_dual_add_f32 v24, v46, v24
	v_fma_f32 v46, 0x3f6eb680, v39, -v50
	v_add_f32_e32 v20, v54, v20
	v_add_f32_e32 v30, v52, v30
	v_fmac_f32_e32 v50, 0x3f6eb680, v39
	v_add_f32_e32 v32, v33, v32
	v_add_f32_e32 v34, v46, v34
	v_fma_f32 v46, 0x3dbcf732, v39, -v51
	s_delay_alu instid0(VALU_DEP_4) | instskip(NEXT) | instid1(VALU_DEP_4)
	v_dual_fmac_f32 v51, 0x3dbcf732, v39 :: v_dual_add_f32 v28, v50, v28
	v_dual_mul_f32 v33, 0x3f4c4adb, v29 :: v_dual_add_f32 v22, v22, v32
	s_delay_alu instid0(VALU_DEP_3) | instskip(SKIP_1) | instid1(VALU_DEP_4)
	v_dual_add_f32 v37, v46, v37 :: v_dual_add_f32 v26, v61, v26
	v_mul_f32_e32 v32, 0xbf4c4adb, v23
	v_add_f32_e32 v48, v51, v48
	s_delay_alu instid0(VALU_DEP_3) | instskip(NEXT) | instid1(VALU_DEP_1)
	v_add_f32_e32 v26, v55, v26
	v_add_f32_e32 v26, v49, v26
	v_fma_f32 v49, 0xbf59a7d5, v39, -v35
	s_delay_alu instid0(VALU_DEP_1) | instskip(SKIP_1) | instid1(VALU_DEP_2)
	v_dual_fmac_f32 v35, 0xbf59a7d5, v39 :: v_dual_add_f32 v20, v49, v20
	v_mul_f32_e32 v49, 0xbf2c7751, v47
	v_dual_add_f32 v35, v35, v40 :: v_dual_mul_f32 v40, 0xbe3c28d5, v47
	v_mul_f32_e32 v47, 0x3f65296c, v47
	s_delay_alu instid0(VALU_DEP_3) | instskip(SKIP_1) | instid1(VALU_DEP_4)
	v_fma_f32 v46, 0x3f3d2fb0, v39, -v49
	v_fmac_f32_e32 v49, 0x3f3d2fb0, v39
	v_fma_f32 v50, 0xbf7ba420, v39, -v40
	v_fmac_f32_e32 v40, 0xbf7ba420, v39
	s_delay_alu instid0(VALU_DEP_4) | instskip(NEXT) | instid1(VALU_DEP_4)
	v_add_f32_e32 v38, v46, v38
	v_dual_add_f32 v30, v49, v30 :: v_dual_mul_f32 v49, 0x3f65296c, v29
	v_fma_f32 v46, 0x3ee437d1, v39, -v47
	v_fmac_f32_e32 v47, 0x3ee437d1, v39
	v_dual_add_f32 v39, v40, v44 :: v_dual_mul_f32 v44, 0xbf7ee86f, v29
	s_delay_alu instid0(VALU_DEP_4) | instskip(NEXT) | instid1(VALU_DEP_4)
	v_fma_f32 v40, 0x3ee437d1, v27, -v49
	v_add_f32_e32 v36, v46, v36
	v_mul_f32_e32 v46, 0xbeb8f4ab, v29
	v_add_f32_e32 v10, v47, v10
	v_fma_f32 v47, 0xbf1a4643, v27, -v33
	v_add_f32_e32 v24, v40, v24
	v_fma_f32 v40, 0x3dbcf732, v27, -v44
	v_fmac_f32_e32 v44, 0x3dbcf732, v27
	v_fmac_f32_e32 v33, 0xbf1a4643, v27
	v_dual_fmac_f32 v49, 0x3ee437d1, v27 :: v_dual_add_f32 v20, v47, v20
	s_delay_alu instid0(VALU_DEP_4) | instskip(NEXT) | instid1(VALU_DEP_4)
	v_add_f32_e32 v34, v40, v34
	v_add_f32_e32 v28, v44, v28
	v_fma_f32 v40, 0x3f6eb680, v27, -v46
	v_dual_mul_f32 v44, 0xbe3c28d5, v29 :: v_dual_add_f32 v33, v33, v35
	v_fmac_f32_e32 v46, 0x3f6eb680, v27
	s_delay_alu instid0(VALU_DEP_3) | instskip(SKIP_1) | instid1(VALU_DEP_4)
	v_dual_add_f32 v26, v49, v26 :: v_dual_add_f32 v35, v40, v37
	v_mul_f32_e32 v37, 0x3f2c7751, v29
	v_fma_f32 v40, 0xbf7ba420, v27, -v44
	v_fmac_f32_e32 v44, 0xbf7ba420, v27
	v_dual_mul_f32 v29, 0xbf763a35, v29 :: v_dual_add_f32 v46, v46, v48
	s_delay_alu instid0(VALU_DEP_4) | instskip(NEXT) | instid1(VALU_DEP_4)
	v_fma_f32 v47, 0x3f3d2fb0, v27, -v37
	v_add_f32_e32 v38, v40, v38
	s_delay_alu instid0(VALU_DEP_4) | instskip(NEXT) | instid1(VALU_DEP_4)
	v_add_f32_e32 v30, v44, v30
	v_fma_f32 v40, 0xbe8c1d8e, v27, -v29
	v_mul_f32_e32 v44, 0x3eb8f4ab, v23
	v_fmac_f32_e32 v37, 0x3f3d2fb0, v27
	v_fmac_f32_e32 v29, 0xbe8c1d8e, v27
	s_delay_alu instid0(VALU_DEP_4) | instskip(NEXT) | instid1(VALU_DEP_4)
	v_add_f32_e32 v27, v40, v36
	v_fma_f32 v31, 0x3f6eb680, v25, -v44
	v_mul_f32_e32 v36, 0xbf06c442, v23
	s_delay_alu instid0(VALU_DEP_4) | instskip(SKIP_1) | instid1(VALU_DEP_4)
	v_add_f32_e32 v10, v29, v10
	v_add_f32_e32 v37, v37, v39
	v_dual_mul_f32 v39, 0x3f65296c, v23 :: v_dual_add_f32 v24, v31, v24
	s_delay_alu instid0(VALU_DEP_4) | instskip(SKIP_2) | instid1(VALU_DEP_3)
	v_fma_f32 v29, 0xbf59a7d5, v25, -v36
	v_mul_f32_e32 v31, 0x3f2c7751, v23
	v_fmac_f32_e32 v36, 0xbf59a7d5, v25
	v_dual_fmac_f32 v44, 0x3f6eb680, v25 :: v_dual_add_f32 v29, v29, v34
	s_delay_alu instid0(VALU_DEP_3) | instskip(NEXT) | instid1(VALU_DEP_3)
	v_fma_f32 v34, 0x3f3d2fb0, v25, -v31
	v_dual_fmac_f32 v31, 0x3f3d2fb0, v25 :: v_dual_add_f32 v28, v36, v28
	v_fma_f32 v36, 0xbf1a4643, v25, -v32
	v_add_f32_e32 v42, v59, v42
	s_delay_alu instid0(VALU_DEP_3) | instskip(SKIP_1) | instid1(VALU_DEP_3)
	v_dual_add_f32 v20, v34, v20 :: v_dual_add_f32 v31, v31, v33
	v_fma_f32 v34, 0x3ee437d1, v25, -v39
	v_dual_add_f32 v33, v36, v35 :: v_dual_add_f32 v42, v53, v42
	v_mul_f32_e32 v35, 0xbf763a35, v23
	s_delay_alu instid0(VALU_DEP_3) | instskip(SKIP_1) | instid1(VALU_DEP_4)
	v_dual_mul_f32 v23, 0x3f7ee86f, v23 :: v_dual_add_f32 v34, v34, v38
	v_fmac_f32_e32 v32, 0xbf1a4643, v25
	v_add_f32_e32 v42, v50, v42
	s_delay_alu instid0(VALU_DEP_4) | instskip(NEXT) | instid1(VALU_DEP_4)
	v_fma_f32 v36, 0xbe8c1d8e, v25, -v35
	v_fma_f32 v38, 0x3dbcf732, v25, -v23
	v_fmac_f32_e32 v23, 0x3dbcf732, v25
	s_delay_alu instid0(VALU_DEP_4) | instskip(SKIP_2) | instid1(VALU_DEP_4)
	v_dual_fmac_f32 v39, 0x3ee437d1, v25 :: v_dual_add_f32 v42, v47, v42
	v_fmac_f32_e32 v35, 0xbe8c1d8e, v25
	v_lshl_add_u32 v25, v56, 6, v57
	v_dual_add_f32 v27, v38, v27 :: v_dual_add_f32 v10, v23, v10
	s_delay_alu instid0(VALU_DEP_4)
	v_add_f32_e32 v36, v36, v42
	v_add_f32_e32 v26, v44, v26
	v_add_f32_e32 v32, v32, v46
	v_add_f32_e32 v30, v39, v30
	v_add_f32_e32 v35, v35, v37
	ds_store_2addr_b32 v25, v15, v22 offset1:1
	ds_store_2addr_b32 v25, v24, v29 offset0:2 offset1:3
	ds_store_2addr_b32 v25, v20, v33 offset0:4 offset1:5
	;; [unrolled: 1-line block ×7, first 2 shown]
	ds_store_b32 v25, v63 offset:64
.LBB0_15:
	s_wait_alu 0xfffe
	s_or_b32 exec_lo, exec_lo, s1
	v_add_nc_u32_e32 v59, 0x66, v56
	v_and_b32_e32 v10, 0xff, v56
	v_add_nc_u32_e32 v68, 0x132, v56
	global_wb scope:SCOPE_SE
	s_wait_dscnt 0x0
	s_barrier_signal -1
	v_and_b32_e32 v67, 0xff, v59
	v_mul_lo_u16 v10, 0xf1, v10
	s_barrier_wait -1
	global_inv scope:SCOPE_SE
	v_add_nc_u32_e32 v61, 0x198, v56
	v_mul_lo_u16 v15, 0xf1, v67
	v_lshrrev_b16 v20, 12, v10
	v_add_nc_u32_e32 v62, 0x264, v56
	v_add_nc_u32_e32 v86, 0x2ca, v56
	v_and_b32_e32 v26, 0xffff, v61
	v_lshrrev_b16 v40, 12, v15
	v_mul_lo_u16 v22, v20, 17
	v_and_b32_e32 v34, 0xffff, v62
	v_and_b32_e32 v35, 0xffff, v86
	v_mul_u32_u24_e32 v71, 0xf0f1, v26
	v_mul_lo_u16 v23, v40, 17
	v_sub_nc_u16 v22, v56, v22
	v_mul_u32_u24_e32 v87, 0xf0f1, v34
	v_mul_u32_u24_e32 v88, 0xf0f1, v35
	v_lshrrev_b32_e32 v80, 20, v71
	v_sub_nc_u16 v23, v59, v23
	v_and_b32_e32 v42, 0xff, v22
	v_and_b32_e32 v22, 0xffff, v68
	v_lshrrev_b32_e32 v89, 20, v87
	v_lshrrev_b32_e32 v90, 20, v88
	v_and_b32_e32 v44, 0xff, v23
	v_lshlrev_b32_e32 v23, 3, v42
	v_mul_u32_u24_e32 v72, 0xf0f1, v22
	v_mul_lo_u16 v34, v89, 17
	v_mul_lo_u16 v35, v90, 17
	v_lshrrev_b16 v94, 13, v10
	global_load_b64 v[22:23], v23, s[4:5]
	v_add_nc_u32_e32 v60, 0xcc, v56
	v_lshrrev_b32_e32 v79, 20, v72
	v_sub_nc_u16 v34, v62, v34
	v_sub_nc_u16 v35, v86, v35
	v_and_b32_e32 v10, 0xffff, v20
	v_and_b32_e32 v24, 0xffff, v60
	v_lshrrev_b32_e32 v95, 21, v72
	v_and_b32_e32 v91, 0xffff, v34
	v_and_b32_e32 v92, 0xffff, v35
	v_lshrrev_b32_e32 v96, 21, v71
	v_mul_u32_u24_e32 v73, 0xf0f1, v24
	v_lshlrev_b32_e32 v24, 3, v44
	v_lshlrev_b32_e32 v34, 3, v91
	;; [unrolled: 1-line block ×3, first 2 shown]
	v_lshrrev_b32_e32 v88, 21, v88
	v_lshrrev_b32_e32 v78, 20, v73
	global_load_b64 v[24:25], v24, s[4:5]
	v_mul_u32_u24_e32 v10, 0x88, v10
	v_lshrrev_b32_e32 v87, 21, v87
	v_lshrrev_b16 v15, 13, v15
	v_mul_lo_u16 v27, v78, 17
	v_cmp_gt_u32_e64 s0, 34, v56
	s_delay_alu instid0(VALU_DEP_2) | instskip(SKIP_1) | instid1(VALU_DEP_2)
	v_sub_nc_u16 v26, v60, v27
	v_mul_lo_u16 v27, v79, 17
	v_and_b32_e32 v81, 0xffff, v26
	s_delay_alu instid0(VALU_DEP_2) | instskip(SKIP_1) | instid1(VALU_DEP_3)
	v_sub_nc_u16 v26, v68, v27
	v_mul_lo_u16 v27, v80, 17
	v_lshlrev_b32_e32 v28, 3, v81
	s_delay_alu instid0(VALU_DEP_3) | instskip(NEXT) | instid1(VALU_DEP_3)
	v_and_b32_e32 v82, 0xffff, v26
	v_sub_nc_u16 v30, v61, v27
	global_load_b64 v[26:27], v28, s[4:5]
	v_and_b32_e32 v83, 0xffff, v30
	s_delay_alu instid0(VALU_DEP_1) | instskip(SKIP_3) | instid1(VALU_DEP_2)
	v_lshlrev_b32_e32 v30, 3, v83
	global_load_b64 v[30:31], v30, s[4:5]
	v_add_nc_u32_e32 v69, 0x1fe, v56
	v_lshlrev_b32_e32 v28, 3, v82
	v_and_b32_e32 v29, 0xffff, v69
	s_delay_alu instid0(VALU_DEP_1) | instskip(SKIP_3) | instid1(VALU_DEP_2)
	v_mul_u32_u24_e32 v70, 0xf0f1, v29
	global_load_b64 v[28:29], v28, s[4:5]
	v_lshrrev_b32_e32 v84, 20, v70
	v_lshrrev_b32_e32 v97, 21, v70
	v_mul_lo_u16 v32, v84, 17
	s_delay_alu instid0(VALU_DEP_1) | instskip(NEXT) | instid1(VALU_DEP_1)
	v_sub_nc_u16 v32, v69, v32
	v_and_b32_e32 v85, 0xffff, v32
	s_delay_alu instid0(VALU_DEP_1)
	v_lshlrev_b32_e32 v32, 3, v85
	s_clause 0x2
	global_load_b64 v[32:33], v32, s[4:5]
	global_load_b64 v[34:35], v34, s[4:5]
	;; [unrolled: 1-line block ×3, first 2 shown]
	ds_load_2addr_b32 v[38:39], v64 offset0:48 offset1:150
	ds_load_2addr_b32 v[46:47], v43 offset0:124 offset1:226
	ds_load_2addr_b32 v[48:49], v57 offset1:102
	ds_load_2addr_b32 v[50:51], v45 offset0:72 offset1:174
	ds_load_2addr_b32 v[52:53], v21 offset0:76 offset1:178
	;; [unrolled: 1-line block ×5, first 2 shown]
	global_wb scope:SCOPE_SE
	s_wait_loadcnt_dscnt 0x0
	s_barrier_signal -1
	s_barrier_wait -1
	global_inv scope:SCOPE_SE
	v_mul_f32_e32 v93, v38, v23
	v_mul_f32_e32 v23, v18, v23
	s_delay_alu instid0(VALU_DEP_2) | instskip(NEXT) | instid1(VALU_DEP_2)
	v_fmac_f32_e32 v93, v18, v22
	v_fma_f32 v18, v38, v22, -v23
	v_mul_lo_u16 v22, v94, 34
	s_delay_alu instid0(VALU_DEP_2) | instskip(NEXT) | instid1(VALU_DEP_2)
	v_sub_f32_e32 v18, v48, v18
	v_sub_nc_u16 v22, v56, v22
	v_mul_f32_e32 v20, v39, v25
	v_mul_f32_e32 v23, v19, v25
	v_mul_u32_u24_e32 v25, 0x88, v78
	v_mul_u32_u24_e32 v78, 0x88, v84
	v_and_b32_e32 v84, 0xff, v22
	v_fmac_f32_e32 v20, v19, v24
	v_lshrrev_b32_e32 v19, 21, v73
	v_fma_f32 v23, v39, v24, -v23
	v_mul_u32_u24_e32 v39, 0x88, v79
	v_and_b32_e32 v24, 0xffff, v40
	v_mul_u32_u24_e32 v40, 0x88, v80
	v_mul_lo_u16 v80, v95, 34
	v_sub_f32_e32 v20, v3, v20
	s_delay_alu instid0(VALU_DEP_4) | instskip(NEXT) | instid1(VALU_DEP_2)
	v_mul_u32_u24_e32 v24, 0x88, v24
	v_fma_f32 v3, v3, 2.0, -v20
	v_mul_f32_e32 v38, v46, v27
	v_dual_mul_f32 v27, v13, v27 :: v_dual_lshlrev_b32 v42, 2, v42
	s_delay_alu instid0(VALU_DEP_2) | instskip(NEXT) | instid1(VALU_DEP_2)
	v_fmac_f32_e32 v38, v13, v26
	v_fma_f32 v13, v46, v26, -v27
	v_mul_u32_u24_e32 v27, 0x88, v89
	v_mul_u32_u24_e32 v46, 0x88, v90
	v_mul_f32_e32 v79, v50, v31
	s_delay_alu instid0(VALU_DEP_1) | instskip(SKIP_2) | instid1(VALU_DEP_2)
	v_fmac_f32_e32 v79, v11, v30
	v_mul_f32_e32 v26, v47, v29
	v_mul_f32_e32 v29, v14, v29
	v_fmac_f32_e32 v26, v14, v28
	s_delay_alu instid0(VALU_DEP_2)
	v_fma_f32 v28, v47, v28, -v29
	v_mul_f32_e32 v29, v11, v31
	v_mul_lo_u16 v31, v19, 34
	v_mul_lo_u16 v47, v88, 34
	;; [unrolled: 1-line block ×3, first 2 shown]
	v_mul_u32_u24_e32 v19, 0x110, v19
	v_fma_f32 v11, v50, v30, -v29
	v_mul_lo_u16 v29, v96, 34
	v_mul_lo_u16 v30, v97, 34
	v_sub_nc_u16 v22, v60, v31
	v_add3_u32 v31, 0, v10, v42
	v_sub_nc_u16 v42, v68, v80
	v_sub_nc_u16 v29, v61, v29
	;; [unrolled: 1-line block ×3, first 2 shown]
	v_and_b32_e32 v80, 0xffff, v22
	v_lshlrev_b32_e32 v22, 2, v44
	v_sub_nc_u16 v47, v86, v47
	v_and_b32_e32 v86, 0xffff, v29
	v_and_b32_e32 v89, 0xffff, v30
	v_lshlrev_b32_e32 v29, 2, v81
	v_lshlrev_b32_e32 v30, 2, v82
	v_add3_u32 v24, 0, v24, v22
	v_mul_lo_u16 v50, v87, 34
	v_mul_f32_e32 v10, v51, v33
	v_lshlrev_b32_e32 v44, 2, v83
	v_mul_f32_e32 v22, v76, v35
	v_add3_u32 v25, 0, v25, v29
	v_add3_u32 v29, 0, v39, v30
	v_fmac_f32_e32 v10, v12, v32
	v_dual_mul_f32 v12, v12, v33 :: v_dual_lshlrev_b32 v33, 3, v84
	v_fmac_f32_e32 v22, v8, v34
	v_add3_u32 v30, 0, v40, v44
	v_dual_mul_f32 v35, v8, v35 :: v_dual_mul_f32 v44, v77, v37
	v_dual_mul_f32 v37, v9, v37 :: v_dual_and_b32 v42, 0xffff, v42
	v_and_b32_e32 v47, 0xffff, v47
	v_lshlrev_b32_e32 v82, 2, v91
	v_lshlrev_b32_e32 v83, 2, v92
	v_fma_f32 v8, v76, v34, -v35
	v_sub_f32_e32 v34, v2, v93
	v_dual_fmac_f32 v44, v9, v36 :: v_dual_lshlrev_b32 v91, 3, v89
	v_fma_f32 v9, v77, v36, -v37
	v_dual_sub_f32 v36, v49, v23 :: v_dual_sub_f32 v23, v0, v38
	v_dual_sub_f32 v38, v54, v11 :: v_dual_sub_f32 v11, v4, v22
	v_sub_nc_u16 v50, v62, v50
	v_lshlrev_b32_e32 v81, 2, v85
	v_sub_f32_e32 v37, v52, v13
	v_sub_f32_e32 v13, v1, v26
	v_fma_f32 v12, v51, v32, -v12
	v_and_b32_e32 v50, 0xffff, v50
	v_lshlrev_b32_e32 v51, 3, v80
	v_dual_sub_f32 v26, v53, v28 :: v_dual_lshlrev_b32 v85, 3, v42
	v_fma_f32 v35, v48, 2.0, -v18
	v_sub_f32_e32 v28, v6, v79
	v_sub_f32_e32 v10, v7, v10
	;; [unrolled: 1-line block ×4, first 2 shown]
	v_sub_nc_u16 v14, v59, v14
	v_fma_f32 v2, v2, 2.0, -v34
	v_fma_f32 v0, v0, 2.0, -v23
	;; [unrolled: 1-line block ×7, first 2 shown]
	v_add3_u32 v39, 0, v78, v81
	v_add3_u32 v27, 0, v27, v82
	v_add3_u32 v40, 0, v46, v83
	v_dual_sub_f32 v46, v55, v12 :: v_dual_lshlrev_b32 v83, 2, v50
	v_dual_sub_f32 v44, v75, v9 :: v_dual_and_b32 v15, 0xffff, v15
	ds_store_2addr_b32 v31, v2, v34 offset1:17
	ds_store_2addr_b32 v24, v3, v20 offset1:17
	;; [unrolled: 1-line block ×8, first 2 shown]
	global_wb scope:SCOPE_SE
	s_wait_dscnt 0x0
	s_barrier_signal -1
	s_barrier_wait -1
	global_inv scope:SCOPE_SE
	ds_load_2addr_b32 v[6:7], v57 offset1:102
	ds_load_2addr_b32 v[22:23], v64 offset0:48 offset1:150
	ds_load_2addr_b32 v[8:9], v21 offset0:76 offset1:178
	;; [unrolled: 1-line block ×7, first 2 shown]
	v_and_b32_e32 v14, 0xff, v14
	v_fma_f32 v49, v49, 2.0, -v36
	v_fma_f32 v52, v52, 2.0, -v37
	;; [unrolled: 1-line block ×3, first 2 shown]
	v_lshlrev_b32_e32 v90, 3, v86
	v_lshlrev_b32_e32 v32, 3, v14
	v_fma_f32 v54, v54, 2.0, -v38
	v_lshlrev_b32_e32 v92, 3, v50
	v_lshlrev_b32_e32 v98, 3, v47
	v_fma_f32 v55, v55, 2.0, -v46
	v_fma_f32 v74, v74, 2.0, -v48
	;; [unrolled: 1-line block ×3, first 2 shown]
	global_wb scope:SCOPE_SE
	s_wait_dscnt 0x0
	s_barrier_signal -1
	s_barrier_wait -1
	global_inv scope:SCOPE_SE
	ds_store_2addr_b32 v31, v35, v18 offset1:17
	ds_store_2addr_b32 v24, v49, v36 offset1:17
	ds_store_2addr_b32 v25, v52, v37 offset1:17
	ds_store_2addr_b32 v29, v53, v26 offset1:17
	ds_store_2addr_b32 v30, v54, v38 offset1:17
	ds_store_2addr_b32 v39, v55, v46 offset1:17
	ds_store_2addr_b32 v27, v74, v48 offset1:17
	ds_store_2addr_b32 v40, v75, v44 offset1:17
	global_wb scope:SCOPE_SE
	s_wait_dscnt 0x0
	s_barrier_signal -1
	s_barrier_wait -1
	global_inv scope:SCOPE_SE
	s_clause 0x7
	global_load_b64 v[38:39], v33, s[4:5] offset:136
	global_load_b64 v[28:29], v32, s[4:5] offset:136
	;; [unrolled: 1-line block ×8, first 2 shown]
	v_lshlrev_b32_e32 v44, 2, v84
	v_lshlrev_b32_e32 v84, 2, v47
	ds_load_2addr_b32 v[46:47], v66 offset0:148 offset1:250
	ds_load_2addr_b32 v[50:51], v64 offset0:48 offset1:150
	;; [unrolled: 1-line block ×4, first 2 shown]
	v_and_b32_e32 v18, 0xffff, v94
	v_mul_u32_u24_e32 v15, 0x110, v15
	v_mul_u32_u24_e32 v20, 0x110, v95
	;; [unrolled: 1-line block ×3, first 2 shown]
	v_lshlrev_b32_e32 v42, 2, v42
	v_mul_u32_u24_e32 v18, 0x110, v18
	v_mul_u32_u24_e32 v40, 0x110, v96
	;; [unrolled: 1-line block ×3, first 2 shown]
	v_add3_u32 v84, 0, v74, v84
	v_mul_u32_u24_e32 v48, 0x110, v97
	v_add3_u32 v77, 0, v18, v44
	v_lshlrev_b32_e32 v18, 2, v80
	v_lshlrev_b32_e32 v44, 2, v86
	v_add3_u32 v80, 0, v20, v42
	v_lshlrev_b32_e32 v82, 2, v89
	v_add_nc_u32_e32 v76, 0x600, v57
	v_add3_u32 v79, 0, v19, v18
	v_add_nc_u32_e32 v75, 0x1000, v57
	v_add3_u32 v81, 0, v40, v44
	v_add3_u32 v82, 0, v48, v82
	;; [unrolled: 1-line block ×3, first 2 shown]
	ds_load_2addr_b32 v[48:49], v57 offset1:102
	ds_load_2addr_b32 v[44:45], v21 offset0:76 offset1:178
	ds_load_2addr_b32 v[42:43], v41 offset0:152 offset1:254
	;; [unrolled: 1-line block ×3, first 2 shown]
	global_wb scope:SCOPE_SE
	s_wait_loadcnt_dscnt 0x0
	s_barrier_signal -1
	s_barrier_wait -1
	global_inv scope:SCOPE_SE
	v_dual_mul_f32 v18, v52, v31 :: v_dual_mul_f32 v19, v53, v33
	v_mul_f32_e32 v20, v54, v35
	v_mul_f32_e32 v74, v55, v37
	v_dual_mul_f32 v85, v46, v25 :: v_dual_mul_f32 v86, v47, v27
	s_delay_alu instid0(VALU_DEP_4) | instskip(NEXT) | instid1(VALU_DEP_2)
	v_dual_fmac_f32 v18, v4, v30 :: v_dual_fmac_f32 v19, v5, v32
	v_dual_fmac_f32 v20, v2, v34 :: v_dual_fmac_f32 v85, v0, v24
	s_delay_alu instid0(VALU_DEP_4) | instskip(NEXT) | instid1(VALU_DEP_4)
	v_fmac_f32_e32 v74, v3, v36
	v_fmac_f32_e32 v86, v1, v26
	s_delay_alu instid0(VALU_DEP_4) | instskip(NEXT) | instid1(VALU_DEP_4)
	v_dual_sub_f32 v18, v8, v18 :: v_dual_sub_f32 v19, v9, v19
	v_dual_sub_f32 v85, v12, v85 :: v_dual_lshlrev_b32 v14, 2, v14
	s_delay_alu instid0(VALU_DEP_4) | instskip(NEXT) | instid1(VALU_DEP_4)
	v_dual_sub_f32 v20, v10, v20 :: v_dual_sub_f32 v87, v11, v74
	v_sub_f32_e32 v74, v13, v86
	s_delay_alu instid0(VALU_DEP_4) | instskip(NEXT) | instid1(VALU_DEP_4)
	v_fma_f32 v8, v8, 2.0, -v18
	v_add3_u32 v78, 0, v15, v14
	v_dual_mul_f32 v14, v50, v39 :: v_dual_mul_f32 v15, v51, v29
	v_fma_f32 v9, v9, 2.0, -v19
	v_fma_f32 v10, v10, 2.0, -v20
	;; [unrolled: 1-line block ×3, first 2 shown]
	s_delay_alu instid0(VALU_DEP_4) | instskip(SKIP_2) | instid1(VALU_DEP_3)
	v_dual_fmac_f32 v14, v22, v38 :: v_dual_fmac_f32 v15, v23, v28
	v_fma_f32 v12, v12, 2.0, -v85
	v_fma_f32 v13, v13, 2.0, -v74
	v_dual_sub_f32 v14, v6, v14 :: v_dual_sub_f32 v15, v7, v15
	s_delay_alu instid0(VALU_DEP_1) | instskip(NEXT) | instid1(VALU_DEP_2)
	v_fma_f32 v6, v6, 2.0, -v14
	v_fma_f32 v7, v7, 2.0, -v15
	ds_store_2addr_b32 v77, v6, v14 offset1:34
	ds_store_2addr_b32 v78, v7, v15 offset1:34
	ds_store_2addr_b32 v79, v8, v18 offset1:34
	ds_store_2addr_b32 v80, v9, v19 offset1:34
	ds_store_2addr_b32 v81, v10, v20 offset1:34
	ds_store_2addr_b32 v82, v11, v87 offset1:34
	ds_store_2addr_b32 v83, v12, v85 offset1:34
	ds_store_2addr_b32 v84, v13, v74 offset1:34
	global_wb scope:SCOPE_SE
	s_wait_dscnt 0x0
	s_barrier_signal -1
	s_barrier_wait -1
	global_inv scope:SCOPE_SE
	ds_load_2addr_b32 v[8:9], v57 offset1:102
	ds_load_2addr_b32 v[6:7], v76 offset0:24 offset1:160
	ds_load_2addr_b32 v[12:13], v75 offset0:64 offset1:166
	;; [unrolled: 1-line block ×6, first 2 shown]
	ds_load_b32 v64, v57 offset:5984
                                        ; implicit-def: $vgpr65
	s_and_saveexec_b32 s1, s0
	s_cbranch_execz .LBB0_17
; %bb.16:
	ds_load_b32 v74, v57 offset:2040
	ds_load_b32 v58, v57 offset:4216
	ds_load_b32 v65, v57 offset:6392
.LBB0_17:
	s_wait_alu 0xfffe
	s_or_b32 exec_lo, exec_lo, s1
	v_dual_mul_f32 v22, v22, v39 :: v_dual_mul_f32 v23, v23, v29
	v_dual_mul_f32 v4, v4, v31 :: v_dual_mul_f32 v5, v5, v33
	;; [unrolled: 1-line block ×3, first 2 shown]
	s_delay_alu instid0(VALU_DEP_3)
	v_fma_f32 v22, v50, v38, -v22
	v_dual_mul_f32 v0, v0, v25 :: v_dual_mul_f32 v1, v1, v27
	v_fma_f32 v23, v51, v28, -v23
	v_fma_f32 v4, v52, v30, -v4
	;; [unrolled: 1-line block ×5, first 2 shown]
	v_dual_sub_f32 v22, v48, v22 :: v_dual_sub_f32 v23, v49, v23
	v_fma_f32 v0, v46, v24, -v0
	v_fma_f32 v1, v47, v26, -v1
	v_dual_sub_f32 v4, v44, v4 :: v_dual_sub_f32 v5, v45, v5
	v_dual_sub_f32 v2, v42, v2 :: v_dual_sub_f32 v3, v43, v3
	v_fma_f32 v24, v48, 2.0, -v22
	v_sub_f32_e32 v0, v40, v0
	v_sub_f32_e32 v34, v41, v1
	v_fma_f32 v25, v49, 2.0, -v23
	v_fma_f32 v26, v44, 2.0, -v4
	;; [unrolled: 1-line block ×7, first 2 shown]
	global_wb scope:SCOPE_SE
	s_wait_dscnt 0x0
	s_barrier_signal -1
	s_barrier_wait -1
	global_inv scope:SCOPE_SE
	ds_store_2addr_b32 v77, v24, v22 offset1:34
	ds_store_2addr_b32 v78, v25, v23 offset1:34
	;; [unrolled: 1-line block ×8, first 2 shown]
	v_add_nc_u32_e32 v5, 0x200, v57
	v_add_nc_u32_e32 v4, 0x800, v57
	;; [unrolled: 1-line block ×4, first 2 shown]
	global_wb scope:SCOPE_SE
	s_wait_dscnt 0x0
	s_barrier_signal -1
	s_barrier_wait -1
	global_inv scope:SCOPE_SE
	ds_load_2addr_b32 v[2:3], v57 offset1:102
	ds_load_2addr_b32 v[0:1], v76 offset0:24 offset1:160
	ds_load_2addr_b32 v[22:23], v75 offset0:64 offset1:166
	;; [unrolled: 1-line block ×6, first 2 shown]
	ds_load_b32 v30, v57 offset:5984
                                        ; implicit-def: $vgpr31
	s_and_saveexec_b32 s1, s0
	s_cbranch_execz .LBB0_19
; %bb.18:
	ds_load_b32 v34, v57 offset:2040
	ds_load_b32 v63, v57 offset:4216
	;; [unrolled: 1-line block ×3, first 2 shown]
.LBB0_19:
	s_wait_alu 0xfffe
	s_or_b32 exec_lo, exec_lo, s1
	v_lshrrev_b32_e32 v35, 22, v73
	v_lshrrev_b32_e32 v36, 22, v72
	;; [unrolled: 1-line block ×3, first 2 shown]
	v_mul_lo_u16 v40, 0x79, v67
	v_lshrrev_b32_e32 v39, 22, v71
	v_mul_lo_u16 v38, 0x44, v35
	v_mul_lo_u16 v41, 0x44, v36
	v_mul_lo_u16 v43, 0x44, v43
	v_dual_mov_b32 v33, 0 :: v_dual_add_nc_u32 v32, 0xffffffbc, v56
	s_delay_alu instid0(VALU_DEP_4) | instskip(NEXT) | instid1(VALU_DEP_4)
	v_sub_nc_u16 v38, v60, v38
	v_sub_nc_u16 v41, v68, v41
	s_delay_alu instid0(VALU_DEP_4)
	v_sub_nc_u16 v43, v69, v43
	v_mul_lo_u16 v42, 0x44, v39
	v_cmp_gt_u32_e64 s1, 0x44, v56
	v_and_b32_e32 v38, 0xffff, v38
	v_and_b32_e32 v41, 0xffff, v41
	v_lshrrev_b16 v40, 13, v40
	v_sub_nc_u16 v42, v61, v42
	s_wait_alu 0xf1ff
	v_cndmask_b32_e64 v37, v32, v56, s1
	v_lshlrev_b32_e32 v45, 4, v38
	v_lshlrev_b32_e32 v46, 4, v41
	v_mul_lo_u16 v44, 0x44, v40
	s_clause 0x1
	global_load_b128 v[66:69], v45, s[4:5] offset:408
	global_load_b128 v[70:73], v46, s[4:5] offset:408
	v_and_b32_e32 v42, 0xffff, v42
	v_lshlrev_b32_e32 v32, 1, v37
	v_sub_nc_u16 v44, v59, v44
	v_mul_u32_u24_e32 v46, 0x330, v39
	s_delay_alu instid0(VALU_DEP_4) | instskip(NEXT) | instid1(VALU_DEP_3)
	v_lshlrev_b32_e32 v45, 4, v42
	v_and_b32_e32 v44, 0xff, v44
	global_load_b128 v[75:78], v45, s[4:5] offset:408
	v_and_b32_e32 v43, 0xffff, v43
	s_delay_alu instid0(VALU_DEP_1)
	v_lshlrev_b32_e32 v45, 4, v43
	global_load_b128 v[79:82], v45, s[4:5] offset:408
	s_wait_loadcnt_dscnt 0x304
	v_mul_f32_e32 v47, v25, v67
	v_lshlrev_b64_e32 v[32:33], 3, v[32:33]
	s_wait_loadcnt 0x2
	v_mul_f32_e32 v55, v21, v73
	v_dual_mul_f32 v54, v18, v71 :: v_dual_lshlrev_b32 v45, 4, v44
	s_wait_dscnt 0x2
	v_mul_f32_e32 v48, v28, v69
	v_add_co_u32 v32, s1, s4, v32
	s_wait_alu 0xf1ff
	v_add_co_ci_u32_e64 v33, s1, s5, v33, s1
	v_cmp_lt_u32_e64 s1, 0x43, v56
	s_clause 0x1
	global_load_b128 v[83:86], v[32:33], off offset:408
	global_load_b128 v[87:90], v45, s[4:5] offset:408
	v_lshlrev_b32_e32 v33, 2, v37
	s_wait_alu 0xf1ff
	v_cndmask_b32_e64 v32, 0, 0x330, s1
	v_and_b32_e32 v37, 0xffff, v40
	v_mul_u32_u24_e32 v45, 0x330, v36
	v_mul_u32_u24_e32 v40, 0x330, v35
	v_lshl_add_u32 v35, v43, 2, 0
	v_mul_f32_e32 v43, v15, v67
	s_wait_loadcnt 0x3
	v_mul_f32_e32 v67, v19, v76
	global_wb scope:SCOPE_SE
	s_wait_loadcnt_dscnt 0x0
	s_barrier_signal -1
	s_barrier_wait -1
	v_fma_f32 v49, v25, v66, -v43
	v_fma_f32 v25, v26, v70, -v54
	global_inv scope:SCOPE_SE
	v_fmac_f32_e32 v48, v20, v68
	v_mul_f32_e32 v52, v1, v84
	v_add3_u32 v36, 0, v32, v33
	v_mul_u32_u24_e32 v32, 0x330, v37
	v_dual_mul_f32 v50, v24, v88 :: v_dual_lshlrev_b32 v37, 2, v41
	v_lshlrev_b32_e32 v33, 2, v38
	v_dual_mul_f32 v53, v22, v86 :: v_dual_fmac_f32 v52, v7, v83
	s_delay_alu instid0(VALU_DEP_3)
	v_add3_u32 v38, 0, v45, v37
	v_mul_f32_e32 v45, v29, v73
	v_lshlrev_b32_e32 v41, 2, v42
	v_lshlrev_b32_e32 v42, 2, v44
	v_add3_u32 v39, 0, v40, v33
	v_mul_f32_e32 v44, v20, v69
	v_mul_f32_e32 v69, v64, v78
	;; [unrolled: 1-line block ×3, first 2 shown]
	v_add3_u32 v42, 0, v32, v42
	v_mul_f32_e32 v32, v26, v71
	v_mul_f32_e32 v40, v63, v80
	;; [unrolled: 1-line block ×4, first 2 shown]
	v_add3_u32 v37, 0, v46, v41
	v_mul_f32_e32 v46, v30, v78
	v_mul_f32_e32 v41, v31, v82
	v_fma_f32 v20, v29, v72, -v55
	v_fmac_f32_e32 v47, v15, v66
	v_mul_f32_e32 v76, v7, v84
	v_mul_f32_e32 v78, v12, v86
	v_dual_mul_f32 v51, v23, v90 :: v_dual_fmac_f32 v50, v14, v87
	v_fma_f32 v28, v28, v68, -v44
	v_dual_fmac_f32 v32, v18, v70 :: v_dual_fmac_f32 v45, v21, v72
	v_dual_fmac_f32 v33, v19, v75 :: v_dual_fmac_f32 v46, v64, v77
	v_fmac_f32_e32 v53, v12, v85
	v_fma_f32 v12, v24, v87, -v80
	v_sub_f32_e32 v24, v25, v20
	v_dual_fmac_f32 v41, v65, v81 :: v_dual_add_f32 v14, v47, v48
	v_dual_mul_f32 v73, v65, v82 :: v_dual_fmac_f32 v40, v58, v79
	v_mul_f32_e32 v82, v13, v90
	v_fma_f32 v18, v27, v75, -v67
	v_fma_f32 v44, v30, v77, -v69
	;; [unrolled: 1-line block ×4, first 2 shown]
	v_add_f32_e32 v22, v11, v32
	v_add_f32_e32 v30, v8, v52
	v_dual_sub_f32 v21, v49, v28 :: v_dual_add_f32 v26, v6, v33
	v_fmac_f32_e32 v51, v13, v89
	v_dual_add_f32 v13, v10, v47 :: v_dual_sub_f32 v54, v19, v1
	v_add_f32_e32 v27, v33, v46
	v_fma_f32 v10, -0.5, v14, v10
	v_add_f32_e32 v14, v22, v45
	v_fma_f32 v15, v31, v81, -v73
	s_delay_alu instid0(VALU_DEP_4)
	v_dual_sub_f32 v29, v18, v44 :: v_dual_fmac_f32 v6, -0.5, v27
	v_add_f32_e32 v55, v9, v50
	v_fmamk_f32 v27, v21, 0xbf5db3d7, v10
	v_fmac_f32_e32 v10, 0x3f5db3d7, v21
	v_add_f32_e32 v31, v52, v53
	v_fma_f32 v7, v23, v89, -v82
	v_add_f32_e32 v22, v26, v46
	v_dual_add_f32 v26, v55, v51 :: v_dual_add_f32 v23, v32, v45
	v_add_f32_e32 v58, v50, v51
	v_fma_f32 v8, -0.5, v31, v8
	v_fma_f32 v43, v63, v79, -v71
	v_sub_f32_e32 v63, v12, v7
	v_fmac_f32_e32 v11, -0.5, v23
	v_fmac_f32_e32 v9, -0.5, v58
	v_add_f32_e32 v13, v13, v48
	v_add_f32_e32 v23, v30, v53
	v_fmamk_f32 v30, v54, 0xbf5db3d7, v8
	v_fmac_f32_e32 v8, 0x3f5db3d7, v54
	v_fmamk_f32 v21, v24, 0xbf5db3d7, v11
	v_fmac_f32_e32 v11, 0x3f5db3d7, v24
	;; [unrolled: 2-line block ×4, first 2 shown]
	ds_store_2addr_b32 v36, v23, v30 offset1:68
	ds_store_b32 v36, v8 offset:544
	ds_store_2addr_b32 v42, v26, v31 offset1:68
	ds_store_b32 v42, v9 offset:544
	;; [unrolled: 2-line block ×5, first 2 shown]
	s_and_saveexec_b32 s1, s0
	s_cbranch_execz .LBB0_21
; %bb.20:
	v_dual_add_f32 v6, v40, v41 :: v_dual_add_f32 v9, v74, v40
	v_sub_f32_e32 v8, v43, v15
	v_add_nc_u32_e32 v10, 0x1400, v35
	s_delay_alu instid0(VALU_DEP_3) | instskip(NEXT) | instid1(VALU_DEP_4)
	v_fma_f32 v6, -0.5, v6, v74
	v_add_f32_e32 v9, v9, v41
	s_delay_alu instid0(VALU_DEP_2)
	v_fmamk_f32 v11, v8, 0x3f5db3d7, v6
	v_fmac_f32_e32 v6, 0xbf5db3d7, v8
	ds_store_2addr_b32 v10, v9, v6 offset0:148 offset1:216
	ds_store_b32 v35, v11 offset:6256
.LBB0_21:
	s_wait_alu 0xfffe
	s_or_b32 exec_lo, exec_lo, s1
	v_dual_add_f32 v6, v19, v1 :: v_dual_add_f32 v11, v12, v7
	v_dual_add_f32 v8, v2, v19 :: v_dual_sub_f32 v9, v52, v53
	v_add_f32_e32 v10, v3, v12
	s_delay_alu instid0(VALU_DEP_3) | instskip(SKIP_2) | instid1(VALU_DEP_3)
	v_fma_f32 v2, -0.5, v6, v2
	v_sub_f32_e32 v6, v50, v51
	v_dual_add_f32 v12, v49, v28 :: v_dual_fmac_f32 v3, -0.5, v11
	v_dual_add_f32 v1, v8, v1 :: v_dual_fmamk_f32 v8, v9, 0x3f5db3d7, v2
	v_dual_add_f32 v7, v10, v7 :: v_dual_fmac_f32 v2, 0xbf5db3d7, v9
	v_sub_f32_e32 v11, v47, v48
	s_delay_alu instid0(VALU_DEP_4) | instskip(SKIP_2) | instid1(VALU_DEP_3)
	v_dual_add_f32 v9, v4, v49 :: v_dual_fmamk_f32 v10, v6, 0x3f5db3d7, v3
	v_fma_f32 v4, -0.5, v12, v4
	v_dual_fmac_f32 v3, 0xbf5db3d7, v6 :: v_dual_add_f32 v12, v25, v20
	v_add_f32_e32 v6, v9, v28
	v_add_f32_e32 v9, v5, v25
	s_delay_alu instid0(VALU_DEP_4) | instskip(SKIP_2) | instid1(VALU_DEP_4)
	v_fmamk_f32 v13, v11, 0x3f5db3d7, v4
	v_dual_fmac_f32 v4, 0xbf5db3d7, v11 :: v_dual_add_f32 v11, v18, v44
	v_dual_fmac_f32 v5, -0.5, v12 :: v_dual_add_f32 v14, v0, v18
	v_dual_add_f32 v9, v9, v20 :: v_dual_sub_f32 v12, v32, v45
	v_add_nc_u32_e32 v20, 0x200, v57
	s_delay_alu instid0(VALU_DEP_4)
	v_dual_fmac_f32 v0, -0.5, v11 :: v_dual_add_nc_u32 v21, 0x400, v57
	v_sub_f32_e32 v11, v33, v46
	global_wb scope:SCOPE_SE
	s_wait_dscnt 0x0
	s_barrier_signal -1
	s_barrier_wait -1
	global_inv scope:SCOPE_SE
	v_fmamk_f32 v45, v12, 0x3f5db3d7, v5
	v_fmac_f32_e32 v5, 0xbf5db3d7, v12
	v_add_f32_e32 v12, v14, v44
	ds_load_2addr_b32 v[18:19], v57 offset1:102
	ds_load_2addr_b32 v[24:25], v20 offset0:76 offset1:178
	ds_load_2addr_b32 v[30:31], v21 offset0:152 offset1:254
	v_add_nc_u32_e32 v20, 0x800, v57
	v_add_nc_u32_e32 v21, 0xc00, v57
	;; [unrolled: 1-line block ×5, first 2 shown]
	ds_load_2addr_b32 v[26:27], v20 offset0:100 offset1:202
	ds_load_2addr_b32 v[20:21], v21 offset0:48 offset1:150
	;; [unrolled: 1-line block ×5, first 2 shown]
	v_fmamk_f32 v14, v11, 0x3f5db3d7, v0
	v_fmac_f32_e32 v0, 0xbf5db3d7, v11
	global_wb scope:SCOPE_SE
	s_wait_dscnt 0x0
	s_barrier_signal -1
	s_barrier_wait -1
	global_inv scope:SCOPE_SE
	ds_store_2addr_b32 v36, v1, v8 offset1:68
	ds_store_b32 v36, v2 offset:544
	ds_store_2addr_b32 v42, v7, v10 offset1:68
	ds_store_b32 v42, v3 offset:544
	;; [unrolled: 2-line block ×5, first 2 shown]
	s_and_saveexec_b32 s1, s0
	s_cbranch_execz .LBB0_23
; %bb.22:
	v_dual_add_f32 v1, v34, v43 :: v_dual_sub_f32 v2, v40, v41
	v_add_f32_e32 v0, v43, v15
	s_delay_alu instid0(VALU_DEP_1) | instskip(SKIP_1) | instid1(VALU_DEP_2)
	v_dual_add_f32 v1, v1, v15 :: v_dual_fmac_f32 v34, -0.5, v0
	v_add_nc_u32_e32 v0, 0x1400, v35
	v_fmamk_f32 v3, v2, 0x3f5db3d7, v34
	v_fmamk_f32 v2, v2, 0xbf5db3d7, v34
	ds_store_2addr_b32 v0, v1, v3 offset0:148 offset1:216
	ds_store_b32 v35, v2 offset:6256
.LBB0_23:
	s_wait_alu 0xfffe
	s_or_b32 exec_lo, exec_lo, s1
	global_wb scope:SCOPE_SE
	s_wait_dscnt 0x0
	s_barrier_signal -1
	s_barrier_wait -1
	global_inv scope:SCOPE_SE
	s_and_saveexec_b32 s0, vcc_lo
	s_cbranch_execz .LBB0_25
; %bb.24:
	v_mul_hi_u32 v84, 0xa0a0a0a1, v59
	v_mul_u32_u24_e32 v0, 7, v59
	v_mul_u32_u24_e32 v1, 7, v56
	v_add_nc_u32_e32 v87, 0x594, v56
	v_mad_co_u64_u32 v[47:48], null, s8, v56, 0
	v_mad_co_u64_u32 v[49:50], null, s8, v60, 0
	v_lshrrev_b32_e32 v84, 7, v84
	v_lshlrev_b32_e32 v38, 3, v1
	v_mad_co_u64_u32 v[75:76], null, s8, v87, 0
	v_add_nc_u32_e32 v85, 0x3fc, v56
	s_delay_alu instid0(VALU_DEP_4) | instskip(SKIP_2) | instid1(VALU_DEP_3)
	v_mad_u32_u24 v97, 0x594, v84, v59
	v_mad_co_u64_u32 v[51:52], null, s8, v61, 0
	v_mad_co_u64_u32 v[53:54], null, s8, v62, 0
	v_add_nc_u32_e32 v105, 0x4c8, v97
	v_add_nc_u32_e32 v55, 0x400, v57
	;; [unrolled: 1-line block ×3, first 2 shown]
	v_add_co_u32 v103, vcc_lo, s10, v16
	s_delay_alu instid0(VALU_DEP_4)
	v_mad_co_u64_u32 v[93:94], null, s8, v105, 0
	v_lshlrev_b32_e32 v34, 3, v0
	v_mad_co_u64_u32 v[71:72], null, s8, v85, 0
	s_clause 0x7
	global_load_b128 v[12:15], v34, s[4:5] offset:1496
	global_load_b128 v[8:11], v38, s[4:5] offset:1496
	;; [unrolled: 1-line block ×4, first 2 shown]
	global_load_b64 v[34:35], v34, s[4:5] offset:1544
	global_load_b64 v[36:37], v38, s[4:5] offset:1544
	global_load_b128 v[39:42], v38, s[4:5] offset:1512
	global_load_b128 v[43:46], v38, s[4:5] offset:1528
	v_add_nc_u32_e32 v86, 0x4c8, v56
	v_add_nc_u32_e32 v38, 0xc00, v57
	;; [unrolled: 1-line block ×5, first 2 shown]
	v_mad_co_u64_u32 v[73:74], null, s8, v86, 0
	v_add_nc_u32_e32 v83, 0x330, v56
	s_wait_alu 0xfffd
	v_add_co_ci_u32_e32 v104, vcc_lo, s11, v17, vcc_lo
	v_add_nc_u32_e32 v98, 0xcc, v97
	v_add_nc_u32_e32 v100, 0x264, v97
	v_mad_co_u64_u32 v[69:70], null, s8, v83, 0
	v_add_nc_u32_e32 v79, 0x800, v57
	ds_load_2addr_b32 v[16:17], v57 offset1:102
	ds_load_2addr_b32 v[57:58], v38 offset0:48 offset1:150
	ds_load_2addr_b32 v[63:64], v55 offset0:152 offset1:254
	;; [unrolled: 1-line block ×4, first 2 shown]
	v_mov_b32_e32 v38, v48
	v_mov_b32_e32 v48, v50
	;; [unrolled: 1-line block ×4, first 2 shown]
	v_add_nc_u32_e32 v102, 0x3fc, v97
	v_add_nc_u32_e32 v106, 0x594, v97
	s_wait_loadcnt 0x1
	v_mad_co_u64_u32 v[54:55], null, s9, v56, v[38:39]
	v_mov_b32_e32 v38, v70
	v_mad_co_u64_u32 v[55:56], null, s9, v60, v[48:49]
	v_mov_b32_e32 v48, v72
	v_mad_co_u64_u32 v[60:61], null, s9, v61, v[50:51]
	v_mov_b32_e32 v50, v74
	v_mad_co_u64_u32 v[61:62], null, s9, v62, v[52:53]
	v_mov_b32_e32 v52, v76
	v_mad_co_u64_u32 v[83:84], null, s9, v83, v[38:39]
	v_mad_co_u64_u32 v[84:85], null, s9, v85, v[48:49]
	;; [unrolled: 1-line block ×3, first 2 shown]
	v_mov_b32_e32 v48, v54
	v_mad_co_u64_u32 v[86:87], null, s9, v87, v[52:53]
	v_mad_co_u64_u32 v[87:88], null, s8, v97, 0
	v_dual_mov_b32 v50, v55 :: v_dual_add_nc_u32 v99, 0x198, v97
	v_dual_mov_b32 v52, v60 :: v_dual_add_nc_u32 v101, 0x330, v97
	v_mad_co_u64_u32 v[55:56], null, s8, v98, 0
	s_delay_alu instid0(VALU_DEP_4) | instskip(SKIP_3) | instid1(VALU_DEP_4)
	v_mov_b32_e32 v38, v88
	v_mov_b32_e32 v70, v83
	;; [unrolled: 1-line block ×3, first 2 shown]
	v_mad_co_u64_u32 v[59:60], null, s8, v99, 0
	v_mad_co_u64_u32 v[83:84], null, s9, v97, v[38:39]
	v_mov_b32_e32 v54, v61
	v_mad_co_u64_u32 v[61:62], null, s8, v100, 0
	v_mad_co_u64_u32 v[89:90], null, s8, v101, 0
	ds_load_2addr_b32 v[77:78], v77 offset0:124 offset1:226
	ds_load_2addr_b32 v[79:80], v79 offset0:100 offset1:202
	ds_load_2addr_b32 v[81:82], v81 offset0:148 offset1:250
	v_dual_mov_b32 v88, v83 :: v_dual_mul_f32 v83, v25, v13
	s_wait_dscnt 0x3
	v_mul_f32_e32 v13, v68, v13
	v_mov_b32_e32 v38, v56
	v_mov_b32_e32 v56, v60
	;; [unrolled: 1-line block ×3, first 2 shown]
	s_delay_alu instid0(VALU_DEP_4) | instskip(NEXT) | instid1(VALU_DEP_4)
	v_dual_mov_b32 v62, v90 :: v_dual_fmac_f32 v13, v25, v12
	v_mad_co_u64_u32 v[97:98], null, s9, v98, v[38:39]
	v_mul_f32_e32 v25, v57, v42
	v_mad_co_u64_u32 v[98:99], null, s9, v99, v[56:57]
	v_mad_co_u64_u32 v[99:100], null, s9, v100, v[60:61]
	;; [unrolled: 1-line block ×3, first 2 shown]
	s_delay_alu instid0(VALU_DEP_4)
	v_dual_mov_b32 v56, v97 :: v_dual_fmac_f32 v25, v20, v41
	v_mov_b32_e32 v74, v85
	v_mov_b32_e32 v60, v98
	v_mul_f32_e32 v98, v23, v5
	s_wait_dscnt 0x2
	v_dual_mul_f32 v5, v78, v5 :: v_dual_mov_b32 v90, v100
	v_dual_mul_f32 v100, v33, v34 :: v_dual_sub_f32 v25, v18, v25
	v_mul_f32_e32 v33, v33, v35
	v_mad_co_u64_u32 v[95:96], null, s8, v106, 0
	v_mov_b32_e32 v85, v94
	v_dual_mul_f32 v97, v29, v6 :: v_dual_mov_b32 v76, v86
	v_fmac_f32_e32 v5, v23, v4
	v_mul_f32_e32 v29, v29, v7
	v_fma_f32 v18, v18, 2.0, -v25
	v_mov_b32_e32 v38, v96
	v_mul_f32_e32 v96, v21, v3
	v_mul_f32_e32 v3, v58, v3
	v_mad_co_u64_u32 v[91:92], null, s8, v102, 0
	v_fmac_f32_e32 v97, v66, v7
	v_fma_f32 v7, v78, v4, -v98
	v_sub_f32_e32 v5, v13, v5
	v_fma_f32 v4, v66, v6, -v29
	v_fmac_f32_e32 v3, v21, v2
	v_lshlrev_b64_e32 v[47:48], 3, v[47:48]
	v_mov_b32_e32 v84, v92
	v_lshlrev_b64_e32 v[49:50], 3, v[49:50]
	v_lshlrev_b64_e32 v[51:52], 3, v[51:52]
	v_sub_f32_e32 v3, v19, v3
	v_lshlrev_b64_e32 v[53:54], 3, v[53:54]
	v_mad_co_u64_u32 v[101:102], null, s9, v102, v[84:85]
	v_mad_co_u64_u32 v[84:85], null, s9, v105, v[85:86]
	;; [unrolled: 1-line block ×3, first 2 shown]
	v_mul_f32_e32 v38, v31, v14
	s_delay_alu instid0(VALU_DEP_4) | instskip(SKIP_1) | instid1(VALU_DEP_3)
	v_dual_mul_f32 v31, v31, v15 :: v_dual_mov_b32 v92, v101
	v_dual_mul_f32 v101, v32, v36 :: v_dual_mov_b32 v62, v99
	v_dual_mul_f32 v99, v27, v0 :: v_dual_fmac_f32 v38, v64, v15
	v_fma_f32 v15, v68, v12, -v83
	s_wait_loadcnt 0x0
	v_mul_f32_e32 v106, v28, v45
	v_mul_f32_e32 v28, v28, v46
	v_fma_f32 v12, v64, v14, -v31
	s_wait_dscnt 0x1
	v_fmac_f32_e32 v99, v80, v1
	v_lshlrev_b64_e32 v[86:87], 3, v[87:88]
	v_sub_f32_e32 v7, v15, v7
	v_lshlrev_b64_e32 v[88:89], 3, v[89:90]
	v_mul_f32_e32 v90, v24, v9
	v_mul_f32_e32 v9, v67, v9
	;; [unrolled: 1-line block ×3, first 2 shown]
	v_fma_f32 v21, v65, v45, -v28
	v_sub_f32_e32 v4, v12, v4
	v_fma_f32 v31, v67, v8, -v90
	v_mul_f32_e32 v94, v30, v10
	v_mul_f32_e32 v30, v30, v11
	v_mul_f32_e32 v14, v20, v42
	v_fmac_f32_e32 v9, v24, v8
	v_fma_f32 v0, v80, v0, -v27
	s_wait_dscnt 0x0
	v_fma_f32 v1, v82, v34, -v33
	v_fma_f32 v8, v63, v10, -v30
	v_fmac_f32_e32 v106, v65, v46
	v_add_f32_e32 v30, v3, v4
	v_fma_f32 v4, v12, 2.0, -v4
	v_fma_f32 v12, v13, 2.0, -v5
	v_dual_fmac_f32 v94, v63, v11 :: v_dual_mul_f32 v105, v22, v44
	v_fma_f32 v14, v57, v41, -v14
	v_dual_sub_f32 v1, v0, v1 :: v_dual_mul_f32 v102, v26, v39
	s_delay_alu instid0(VALU_DEP_3) | instskip(SKIP_2) | instid1(VALU_DEP_4)
	v_sub_f32_e32 v23, v94, v106
	v_fma_f32 v6, v58, v2, -v96
	v_fmac_f32_e32 v101, v81, v37
	v_dual_add_f32 v29, v5, v1 :: v_dual_fmac_f32 v102, v79, v40
	v_fma_f32 v11, v77, v43, -v105
	s_delay_alu instid0(VALU_DEP_4) | instskip(SKIP_4) | instid1(VALU_DEP_4)
	v_sub_f32_e32 v6, v17, v6
	v_sub_f32_e32 v20, v38, v97
	;; [unrolled: 1-line block ×3, first 2 shown]
	v_dual_sub_f32 v21, v8, v21 :: v_dual_mul_f32 v26, v26, v40
	v_dual_sub_f32 v11, v31, v11 :: v_dual_sub_f32 v24, v102, v101
	v_dual_mul_f32 v32, v32, v37 :: v_dual_sub_f32 v27, v6, v20
	v_mul_f32_e32 v44, v77, v44
	v_fma_f32 v16, v16, 2.0, -v14
	v_fma_f32 v8, v8, 2.0, -v21
	v_dual_fmac_f32 v100, v82, v35 :: v_dual_sub_f32 v33, v11, v24
	v_fma_f32 v2, v81, v36, -v32
	v_add_f32_e32 v35, v25, v21
	v_fma_f32 v10, v79, v39, -v26
	v_sub_f32_e32 v40, v16, v8
	v_fmac_f32_e32 v44, v22, v43
	v_sub_f32_e32 v22, v99, v100
	v_sub_f32_e32 v32, v14, v23
	;; [unrolled: 1-line block ×3, first 2 shown]
	v_fma_f32 v19, v19, 2.0, -v3
	v_sub_f32_e32 v26, v9, v44
	v_sub_f32_e32 v28, v7, v22
	v_fma_f32 v39, v3, 2.0, -v30
	v_fmamk_f32 v3, v33, 0x3f3504f3, v32
	v_fma_f32 v43, v14, 2.0, -v32
	v_add_f32_e32 v34, v26, v2
	v_fma_f32 v44, v11, 2.0, -v33
	v_fma_f32 v21, v9, 2.0, -v26
	;; [unrolled: 1-line block ×4, first 2 shown]
	v_fmac_f32_e32 v3, 0xbf3504f3, v34
	v_fma_f32 v9, v102, 2.0, -v24
	v_fma_f32 v24, v31, 2.0, -v11
	v_fmamk_f32 v11, v44, 0xbf3504f3, v43
	v_fma_f32 v36, v6, 2.0, -v27
	v_fma_f32 v17, v17, 2.0, -v6
	v_sub_f32_e32 v41, v21, v9
	v_fma_f32 v10, v10, 2.0, -v2
	v_add_co_u32 v47, vcc_lo, v103, v47
	v_fmamk_f32 v7, v37, 0xbf3504f3, v36
	v_fma_f32 v20, v38, 2.0, -v20
	v_fma_f32 v38, v5, 2.0, -v29
	s_wait_alu 0xfffd
	v_add_co_ci_u32_e32 v48, vcc_lo, v104, v48, vcc_lo
	v_add_co_u32 v49, vcc_lo, v103, v49
	s_delay_alu instid0(VALU_DEP_3) | instskip(SKIP_4) | instid1(VALU_DEP_4)
	v_fmac_f32_e32 v7, 0xbf3504f3, v38
	v_fma_f32 v13, v99, 2.0, -v22
	v_fma_f32 v22, v0, 2.0, -v1
	v_fmamk_f32 v0, v29, 0x3f3504f3, v30
	v_sub_f32_e32 v31, v17, v4
	v_dual_sub_f32 v20, v19, v20 :: v_dual_sub_f32 v13, v12, v13
	v_fma_f32 v23, v94, 2.0, -v23
	v_sub_f32_e32 v22, v15, v22
	v_sub_f32_e32 v42, v24, v10
	s_wait_alu 0xfffd
	v_add_co_ci_u32_e32 v50, vcc_lo, v104, v50, vcc_lo
	v_sub_f32_e32 v23, v18, v23
	v_lshlrev_b64_e32 v[69:70], 3, v[69:70]
	v_add_co_u32 v51, vcc_lo, v103, v51
	s_wait_alu 0xfffd
	v_add_co_ci_u32_e32 v52, vcc_lo, v104, v52, vcc_lo
	v_lshlrev_b64_e32 v[71:72], 3, v[71:72]
	v_add_co_u32 v53, vcc_lo, v103, v53
	v_dual_fmamk_f32 v1, v28, 0x3f3504f3, v27 :: v_dual_fmac_f32 v0, 0x3f3504f3, v28
	v_add_f32_e32 v4, v20, v22
	v_fma_f32 v46, v17, 2.0, -v31
	v_fma_f32 v17, v15, 2.0, -v22
	v_add_f32_e32 v8, v23, v42
	v_fma_f32 v28, v16, 2.0, -v40
	v_fma_f32 v22, v24, 2.0, -v42
	s_wait_alu 0xfffd
	v_add_co_ci_u32_e32 v54, vcc_lo, v104, v54, vcc_lo
	v_lshlrev_b64_e32 v[73:74], 3, v[73:74]
	v_add_co_u32 v69, vcc_lo, v103, v69
	s_wait_alu 0xfffd
	v_add_co_ci_u32_e32 v70, vcc_lo, v104, v70, vcc_lo
	v_fma_f32 v45, v25, 2.0, -v35
	v_fma_f32 v57, v19, 2.0, -v20
	;; [unrolled: 1-line block ×5, first 2 shown]
	v_sub_f32_e32 v23, v28, v22
	v_fma_f32 v26, v26, 2.0, -v34
	v_lshlrev_b64_e32 v[75:76], 3, v[75:76]
	v_add_co_u32 v71, vcc_lo, v103, v71
	s_wait_alu 0xfffd
	v_add_co_ci_u32_e32 v72, vcc_lo, v104, v72, vcc_lo
	v_add_co_u32 v73, vcc_lo, v103, v73
	v_fma_f32 v25, v21, 2.0, -v41
	v_fmamk_f32 v10, v26, 0xbf3504f3, v45
	s_wait_alu 0xfffd
	v_add_co_ci_u32_e32 v74, vcc_lo, v104, v74, vcc_lo
	v_add_co_u32 v75, vcc_lo, v103, v75
	v_lshlrev_b64_e32 v[55:56], 3, v[55:56]
	v_fmamk_f32 v2, v34, 0x3f3504f3, v35
	s_wait_alu 0xfffd
	v_add_co_ci_u32_e32 v76, vcc_lo, v104, v76, vcc_lo
	v_fmamk_f32 v6, v38, 0xbf3504f3, v39
	v_fma_f32 v19, v12, 2.0, -v13
	v_sub_f32_e32 v22, v24, v25
	v_lshlrev_b64_e32 v[59:60], 3, v[59:60]
	v_add_co_u32 v86, vcc_lo, v103, v86
	v_fmac_f32_e32 v1, 0xbf3504f3, v29
	v_fmac_f32_e32 v11, 0xbf3504f3, v26
	v_dual_fmac_f32 v10, 0x3f3504f3, v44 :: v_dual_sub_f32 v9, v40, v41
	s_wait_alu 0xfffd
	v_add_co_ci_u32_e32 v87, vcc_lo, v104, v87, vcc_lo
	v_fmac_f32_e32 v2, 0x3f3504f3, v33
	v_lshlrev_b64_e32 v[61:62], 3, v[61:62]
	v_add_co_u32 v55, vcc_lo, v103, v55
	v_sub_f32_e32 v5, v31, v13
	v_fmac_f32_e32 v6, 0x3f3504f3, v37
	v_dual_sub_f32 v17, v46, v17 :: v_dual_sub_f32 v16, v57, v19
	v_fma_f32 v29, v28, 2.0, -v23
	v_fma_f32 v28, v24, 2.0, -v22
	s_wait_alu 0xfffd
	v_add_co_ci_u32_e32 v56, vcc_lo, v104, v56, vcc_lo
	v_fma_f32 v13, v27, 2.0, -v1
	v_fma_f32 v27, v43, 2.0, -v11
	;; [unrolled: 1-line block ×3, first 2 shown]
	v_add_co_u32 v59, vcc_lo, v103, v59
	v_fma_f32 v21, v40, 2.0, -v9
	v_fma_f32 v19, v32, 2.0, -v3
	v_fma_f32 v18, v35, 2.0, -v2
	v_mov_b32_e32 v94, v84
	s_wait_alu 0xfffd
	v_add_co_ci_u32_e32 v60, vcc_lo, v104, v60, vcc_lo
	v_add_co_u32 v61, vcc_lo, v103, v61
	v_fma_f32 v12, v30, 2.0, -v0
	v_fma_f32 v15, v31, 2.0, -v5
	;; [unrolled: 1-line block ×6, first 2 shown]
	s_clause 0xa
	global_store_b64 v[47:48], v[28:29], off
	global_store_b64 v[49:50], v[26:27], off
	;; [unrolled: 1-line block ×11, first 2 shown]
	v_lshlrev_b64_e32 v[2:3], 3, v[91:92]
	v_mov_b32_e32 v96, v85
	s_wait_alu 0xfffd
	v_add_co_ci_u32_e32 v62, vcc_lo, v104, v62, vcc_lo
	v_add_co_u32 v8, vcc_lo, v103, v88
	v_lshlrev_b64_e32 v[10:11], 3, v[93:94]
	s_wait_alu 0xfffd
	v_add_co_ci_u32_e32 v9, vcc_lo, v104, v89, vcc_lo
	v_add_co_u32 v2, vcc_lo, v103, v2
	v_lshlrev_b64_e32 v[14:15], 3, v[95:96]
	s_wait_alu 0xfffd
	v_add_co_ci_u32_e32 v3, vcc_lo, v104, v3, vcc_lo
	v_add_co_u32 v10, vcc_lo, v103, v10
	s_wait_alu 0xfffd
	v_add_co_ci_u32_e32 v11, vcc_lo, v104, v11, vcc_lo
	v_add_co_u32 v14, vcc_lo, v103, v14
	s_wait_alu 0xfffd
	v_add_co_ci_u32_e32 v15, vcc_lo, v104, v15, vcc_lo
	s_clause 0x4
	global_store_b64 v[61:62], v[12:13], off
	global_store_b64 v[8:9], v[16:17], off
	global_store_b64 v[2:3], v[6:7], off
	global_store_b64 v[10:11], v[4:5], off
	global_store_b64 v[14:15], v[0:1], off
.LBB0_25:
	s_nop 0
	s_sendmsg sendmsg(MSG_DEALLOC_VGPRS)
	s_endpgm
	.section	.rodata,"a",@progbits
	.p2align	6, 0x0
	.amdhsa_kernel fft_rtc_back_len1632_factors_17_2_2_3_8_wgs_102_tpt_102_halfLds_sp_ip_CI_sbrr_dirReg
		.amdhsa_group_segment_fixed_size 0
		.amdhsa_private_segment_fixed_size 0
		.amdhsa_kernarg_size 88
		.amdhsa_user_sgpr_count 2
		.amdhsa_user_sgpr_dispatch_ptr 0
		.amdhsa_user_sgpr_queue_ptr 0
		.amdhsa_user_sgpr_kernarg_segment_ptr 1
		.amdhsa_user_sgpr_dispatch_id 0
		.amdhsa_user_sgpr_private_segment_size 0
		.amdhsa_wavefront_size32 1
		.amdhsa_uses_dynamic_stack 0
		.amdhsa_enable_private_segment 0
		.amdhsa_system_sgpr_workgroup_id_x 1
		.amdhsa_system_sgpr_workgroup_id_y 0
		.amdhsa_system_sgpr_workgroup_id_z 0
		.amdhsa_system_sgpr_workgroup_info 0
		.amdhsa_system_vgpr_workitem_id 0
		.amdhsa_next_free_vgpr 107
		.amdhsa_next_free_sgpr 35
		.amdhsa_reserve_vcc 1
		.amdhsa_float_round_mode_32 0
		.amdhsa_float_round_mode_16_64 0
		.amdhsa_float_denorm_mode_32 3
		.amdhsa_float_denorm_mode_16_64 3
		.amdhsa_fp16_overflow 0
		.amdhsa_workgroup_processor_mode 1
		.amdhsa_memory_ordered 1
		.amdhsa_forward_progress 0
		.amdhsa_round_robin_scheduling 0
		.amdhsa_exception_fp_ieee_invalid_op 0
		.amdhsa_exception_fp_denorm_src 0
		.amdhsa_exception_fp_ieee_div_zero 0
		.amdhsa_exception_fp_ieee_overflow 0
		.amdhsa_exception_fp_ieee_underflow 0
		.amdhsa_exception_fp_ieee_inexact 0
		.amdhsa_exception_int_div_zero 0
	.end_amdhsa_kernel
	.text
.Lfunc_end0:
	.size	fft_rtc_back_len1632_factors_17_2_2_3_8_wgs_102_tpt_102_halfLds_sp_ip_CI_sbrr_dirReg, .Lfunc_end0-fft_rtc_back_len1632_factors_17_2_2_3_8_wgs_102_tpt_102_halfLds_sp_ip_CI_sbrr_dirReg
                                        ; -- End function
	.section	.AMDGPU.csdata,"",@progbits
; Kernel info:
; codeLenInByte = 15276
; NumSgprs: 37
; NumVgprs: 107
; ScratchSize: 0
; MemoryBound: 0
; FloatMode: 240
; IeeeMode: 1
; LDSByteSize: 0 bytes/workgroup (compile time only)
; SGPRBlocks: 4
; VGPRBlocks: 13
; NumSGPRsForWavesPerEU: 37
; NumVGPRsForWavesPerEU: 107
; Occupancy: 12
; WaveLimiterHint : 1
; COMPUTE_PGM_RSRC2:SCRATCH_EN: 0
; COMPUTE_PGM_RSRC2:USER_SGPR: 2
; COMPUTE_PGM_RSRC2:TRAP_HANDLER: 0
; COMPUTE_PGM_RSRC2:TGID_X_EN: 1
; COMPUTE_PGM_RSRC2:TGID_Y_EN: 0
; COMPUTE_PGM_RSRC2:TGID_Z_EN: 0
; COMPUTE_PGM_RSRC2:TIDIG_COMP_CNT: 0
	.text
	.p2alignl 7, 3214868480
	.fill 96, 4, 3214868480
	.type	__hip_cuid_8fb1bf72577344e4,@object ; @__hip_cuid_8fb1bf72577344e4
	.section	.bss,"aw",@nobits
	.globl	__hip_cuid_8fb1bf72577344e4
__hip_cuid_8fb1bf72577344e4:
	.byte	0                               ; 0x0
	.size	__hip_cuid_8fb1bf72577344e4, 1

	.ident	"AMD clang version 19.0.0git (https://github.com/RadeonOpenCompute/llvm-project roc-6.4.0 25133 c7fe45cf4b819c5991fe208aaa96edf142730f1d)"
	.section	".note.GNU-stack","",@progbits
	.addrsig
	.addrsig_sym __hip_cuid_8fb1bf72577344e4
	.amdgpu_metadata
---
amdhsa.kernels:
  - .args:
      - .actual_access:  read_only
        .address_space:  global
        .offset:         0
        .size:           8
        .value_kind:     global_buffer
      - .offset:         8
        .size:           8
        .value_kind:     by_value
      - .actual_access:  read_only
        .address_space:  global
        .offset:         16
        .size:           8
        .value_kind:     global_buffer
      - .actual_access:  read_only
        .address_space:  global
        .offset:         24
        .size:           8
        .value_kind:     global_buffer
      - .offset:         32
        .size:           8
        .value_kind:     by_value
      - .actual_access:  read_only
        .address_space:  global
        .offset:         40
        .size:           8
        .value_kind:     global_buffer
      - .actual_access:  read_only
        .address_space:  global
        .offset:         48
        .size:           8
        .value_kind:     global_buffer
      - .offset:         56
        .size:           4
        .value_kind:     by_value
      - .actual_access:  read_only
        .address_space:  global
        .offset:         64
        .size:           8
        .value_kind:     global_buffer
      - .actual_access:  read_only
        .address_space:  global
        .offset:         72
        .size:           8
        .value_kind:     global_buffer
      - .address_space:  global
        .offset:         80
        .size:           8
        .value_kind:     global_buffer
    .group_segment_fixed_size: 0
    .kernarg_segment_align: 8
    .kernarg_segment_size: 88
    .language:       OpenCL C
    .language_version:
      - 2
      - 0
    .max_flat_workgroup_size: 102
    .name:           fft_rtc_back_len1632_factors_17_2_2_3_8_wgs_102_tpt_102_halfLds_sp_ip_CI_sbrr_dirReg
    .private_segment_fixed_size: 0
    .sgpr_count:     37
    .sgpr_spill_count: 0
    .symbol:         fft_rtc_back_len1632_factors_17_2_2_3_8_wgs_102_tpt_102_halfLds_sp_ip_CI_sbrr_dirReg.kd
    .uniform_work_group_size: 1
    .uses_dynamic_stack: false
    .vgpr_count:     107
    .vgpr_spill_count: 0
    .wavefront_size: 32
    .workgroup_processor_mode: 1
amdhsa.target:   amdgcn-amd-amdhsa--gfx1201
amdhsa.version:
  - 1
  - 2
...

	.end_amdgpu_metadata
